;; amdgpu-corpus repo=ROCm/rocFFT kind=compiled arch=gfx1030 opt=O3
	.text
	.amdgcn_target "amdgcn-amd-amdhsa--gfx1030"
	.amdhsa_code_object_version 6
	.protected	bluestein_single_fwd_len416_dim1_dp_op_CI_CI ; -- Begin function bluestein_single_fwd_len416_dim1_dp_op_CI_CI
	.globl	bluestein_single_fwd_len416_dim1_dp_op_CI_CI
	.p2align	8
	.type	bluestein_single_fwd_len416_dim1_dp_op_CI_CI,@function
bluestein_single_fwd_len416_dim1_dp_op_CI_CI: ; @bluestein_single_fwd_len416_dim1_dp_op_CI_CI
; %bb.0:
	s_load_dwordx4 s[8:11], s[4:5], 0x28
	v_lshrrev_b32_e32 v1, 5, v0
	v_mov_b32_e32 v170, 0
	s_mov_b64 s[50:51], s[2:3]
	s_mov_b64 s[48:49], s[0:1]
	s_mov_b32 s0, exec_lo
	v_lshl_or_b32 v205, s6, 1, v1
	v_mov_b32_e32 v206, v170
	s_add_u32 s48, s48, s7
	s_addc_u32 s49, s49, 0
	s_waitcnt lgkmcnt(0)
	v_cmpx_gt_u64_e64 s[8:9], v[205:206]
	s_cbranch_execz .LBB0_18
; %bb.1:
	s_clause 0x1
	s_load_dwordx4 s[0:3], s[4:5], 0x18
	s_load_dwordx4 s[12:15], s[4:5], 0x0
	v_and_b32_e32 v8, 31, v0
	v_and_b32_e32 v0, 32, v0
	s_mov_b32 s28, 0x42a4c3d2
	s_mov_b32 s34, 0x66966769
	;; [unrolled: 1-line block ×3, first 2 shown]
	v_lshlrev_b32_e32 v11, 4, v8
	v_or_b32_e32 v169, 0xc0, v8
	s_mov_b32 s24, 0x24c2f84
	s_mov_b32 s30, 0x4bc48dbf
	;; [unrolled: 1-line block ×11, first 2 shown]
	s_waitcnt lgkmcnt(0)
	s_load_dwordx4 s[16:19], s[0:1], 0x0
	s_mov_b32 s21, 0x3fec55a7
	s_mov_b32 s7, 0xbfd6b1d8
	;; [unrolled: 1-line block ×8, first 2 shown]
	s_waitcnt lgkmcnt(0)
	v_mad_u64_u32 v[1:2], null, s18, v205, 0
	v_mad_u64_u32 v[3:4], null, s16, v8, 0
	s_lshl_b64 s[0:1], s[16:17], 9
	v_mad_u64_u32 v[5:6], null, s19, v205, v[2:3]
	s_mov_b32 s18, 0x1ea71119
	s_mov_b32 s19, 0x3fe22d96
	v_mad_u64_u32 v[6:7], null, s17, v8, v[4:5]
	v_mov_b32_e32 v2, v5
	v_or_b32_e32 v5, 0xa0, v8
	s_mov_b32 s16, 0xebaa3ed8
	s_mov_b32 s17, 0x3fbedb7d
	v_lshlrev_b64 v[1:2], 4, v[1:2]
	v_mov_b32_e32 v4, v6
	v_lshlrev_b32_e32 v226, 4, v5
	v_add_co_u32 v1, vcc_lo, s10, v1
	v_lshlrev_b64 v[3:4], 4, v[3:4]
	v_add_co_ci_u32_e32 v2, vcc_lo, s11, v2, vcc_lo
	v_add_co_u32 v1, vcc_lo, v1, v3
	v_add_co_ci_u32_e32 v2, vcc_lo, v2, v4, vcc_lo
	global_load_dwordx4 v[16:19], v11, s[12:13]
	global_load_dwordx4 v[29:32], v[1:2], off
	v_add_co_u32 v1, vcc_lo, v1, s0
	v_add_co_ci_u32_e32 v2, vcc_lo, s1, v2, vcc_lo
	global_load_dwordx4 v[20:23], v11, s[12:13] offset:512
	global_load_dwordx4 v[33:36], v[1:2], off
	v_add_co_u32 v1, vcc_lo, v1, s0
	v_add_co_ci_u32_e32 v2, vcc_lo, s1, v2, vcc_lo
	global_load_dwordx4 v[24:27], v11, s[12:13] offset:1024
	global_load_dwordx4 v[37:40], v[1:2], off
	v_add_co_u32 v1, vcc_lo, v1, s0
	v_add_co_ci_u32_e32 v2, vcc_lo, s1, v2, vcc_lo
	v_or_b32_e32 v4, 0x80, v8
	global_load_dwordx4 v[12:15], v11, s[12:13] offset:1536
	global_load_dwordx4 v[41:44], v[1:2], off
	v_add_co_u32 v1, vcc_lo, v1, s0
	v_lshlrev_b32_e32 v222, 4, v4
	v_add_co_ci_u32_e32 v2, vcc_lo, s1, v2, vcc_lo
	global_load_dwordx4 v[75:78], v222, s[12:13]
	global_load_dwordx4 v[45:48], v[1:2], off
	v_add_co_u32 v1, vcc_lo, v1, s0
	v_add_co_ci_u32_e32 v2, vcc_lo, s1, v2, vcc_lo
	global_load_dwordx4 v[79:82], v226, s[12:13]
	global_load_dwordx4 v[49:52], v[1:2], off
	v_add_co_u32 v1, vcc_lo, v1, s0
	v_lshlrev_b32_e32 v3, 4, v169
	v_add_co_ci_u32_e32 v2, vcc_lo, s1, v2, vcc_lo
	global_load_dwordx4 v[83:86], v3, s[12:13]
	global_load_dwordx4 v[53:56], v[1:2], off
	v_or_b32_e32 v3, 0xe0, v8
	v_add_co_u32 v1, vcc_lo, v1, s0
	v_add_co_ci_u32_e32 v2, vcc_lo, s1, v2, vcc_lo
	v_lshlrev_b32_e32 v223, 4, v3
	v_or_b32_e32 v3, 0x100, v8
	v_lshlrev_b32_e32 v225, 4, v3
	v_or_b32_e32 v3, 0x120, v8
	;; [unrolled: 2-line block ×5, first 2 shown]
	v_lshlrev_b32_e32 v224, 4, v3
	s_waitcnt vmcnt(12)
	v_mul_f64 v[6:7], v[31:32], v[18:19]
	v_mul_f64 v[9:10], v[29:30], v[18:19]
	v_fma_f64 v[57:58], v[29:30], v[16:17], v[6:7]
	buffer_store_dword v16, off, s[48:51], 0 offset:16 ; 4-byte Folded Spill
	buffer_store_dword v17, off, s[48:51], 0 offset:20 ; 4-byte Folded Spill
	buffer_store_dword v18, off, s[48:51], 0 offset:24 ; 4-byte Folded Spill
	buffer_store_dword v19, off, s[48:51], 0 offset:28 ; 4-byte Folded Spill
	s_waitcnt vmcnt(10)
	v_mul_f64 v[6:7], v[35:36], v[22:23]
	v_fma_f64 v[61:62], v[33:34], v[20:21], v[6:7]
	s_waitcnt vmcnt(8)
	v_mul_f64 v[6:7], v[39:40], v[26:27]
	v_fma_f64 v[65:66], v[37:38], v[24:25], v[6:7]
	;; [unrolled: 3-line block ×4, first 2 shown]
	s_waitcnt vmcnt(2)
	v_mul_f64 v[6:7], v[51:52], v[81:82]
	v_fma_f64 v[59:60], v[31:32], v[16:17], -v[9:10]
	v_mul_f64 v[9:10], v[33:34], v[22:23]
	buffer_store_dword v20, off, s[48:51], 0 offset:32 ; 4-byte Folded Spill
	buffer_store_dword v21, off, s[48:51], 0 offset:36 ; 4-byte Folded Spill
	;; [unrolled: 1-line block ×4, first 2 shown]
	v_fma_f64 v[63:64], v[35:36], v[20:21], -v[9:10]
	v_mul_f64 v[9:10], v[37:38], v[26:27]
	buffer_store_dword v24, off, s[48:51], 0 offset:48 ; 4-byte Folded Spill
	buffer_store_dword v25, off, s[48:51], 0 offset:52 ; 4-byte Folded Spill
	;; [unrolled: 1-line block ×4, first 2 shown]
	v_fma_f64 v[67:68], v[39:40], v[24:25], -v[9:10]
	v_mul_f64 v[9:10], v[41:42], v[14:15]
	buffer_store_dword v12, off, s[48:51], 0 ; 4-byte Folded Spill
	buffer_store_dword v13, off, s[48:51], 0 offset:4 ; 4-byte Folded Spill
	buffer_store_dword v14, off, s[48:51], 0 offset:8 ; 4-byte Folded Spill
	;; [unrolled: 1-line block ×3, first 2 shown]
	v_fma_f64 v[71:72], v[43:44], v[12:13], -v[9:10]
	v_mul_f64 v[9:10], v[45:46], v[77:78]
	buffer_store_dword v75, off, s[48:51], 0 offset:80 ; 4-byte Folded Spill
	buffer_store_dword v76, off, s[48:51], 0 offset:84 ; 4-byte Folded Spill
	;; [unrolled: 1-line block ×4, first 2 shown]
	v_fma_f64 v[77:78], v[49:50], v[79:80], v[6:7]
	s_waitcnt vmcnt(0)
	v_mul_f64 v[6:7], v[55:56], v[85:86]
	v_fma_f64 v[75:76], v[47:48], v[75:76], -v[9:10]
	v_mul_f64 v[9:10], v[49:50], v[81:82]
	buffer_store_dword v79, off, s[48:51], 0 offset:64 ; 4-byte Folded Spill
	buffer_store_dword v80, off, s[48:51], 0 offset:68 ; 4-byte Folded Spill
	buffer_store_dword v81, off, s[48:51], 0 offset:72 ; 4-byte Folded Spill
	buffer_store_dword v82, off, s[48:51], 0 offset:76 ; 4-byte Folded Spill
	v_fma_f64 v[79:80], v[51:52], v[79:80], -v[9:10]
	v_mul_f64 v[9:10], v[53:54], v[85:86]
	v_fma_f64 v[53:54], v[53:54], v[83:84], v[6:7]
	buffer_store_dword v83, off, s[48:51], 0 offset:96 ; 4-byte Folded Spill
	buffer_store_dword v84, off, s[48:51], 0 offset:100 ; 4-byte Folded Spill
	;; [unrolled: 1-line block ×4, first 2 shown]
	global_load_dwordx4 v[12:15], v223, s[12:13]
	global_load_dwordx4 v[33:36], v[1:2], off
	v_add_co_u32 v1, vcc_lo, v1, s0
	v_add_co_ci_u32_e32 v2, vcc_lo, s1, v2, vcc_lo
	v_fma_f64 v[55:56], v[55:56], v[83:84], -v[9:10]
	s_waitcnt vmcnt(0)
	v_mul_f64 v[6:7], v[35:36], v[14:15]
	v_mul_f64 v[9:10], v[33:34], v[14:15]
	v_fma_f64 v[81:82], v[33:34], v[12:13], v[6:7]
	buffer_store_dword v12, off, s[48:51], 0 offset:112 ; 4-byte Folded Spill
	buffer_store_dword v13, off, s[48:51], 0 offset:116 ; 4-byte Folded Spill
	buffer_store_dword v14, off, s[48:51], 0 offset:120 ; 4-byte Folded Spill
	buffer_store_dword v15, off, s[48:51], 0 offset:124 ; 4-byte Folded Spill
	v_fma_f64 v[83:84], v[35:36], v[12:13], -v[9:10]
	global_load_dwordx4 v[12:15], v225, s[12:13]
	global_load_dwordx4 v[37:40], v[1:2], off
	v_add_co_u32 v1, vcc_lo, v1, s0
	v_add_co_ci_u32_e32 v2, vcc_lo, s1, v2, vcc_lo
	s_waitcnt vmcnt(0)
	v_mul_f64 v[6:7], v[39:40], v[14:15]
	v_mul_f64 v[9:10], v[37:38], v[14:15]
	v_fma_f64 v[85:86], v[37:38], v[12:13], v[6:7]
	buffer_store_dword v12, off, s[48:51], 0 offset:128 ; 4-byte Folded Spill
	buffer_store_dword v13, off, s[48:51], 0 offset:132 ; 4-byte Folded Spill
	buffer_store_dword v14, off, s[48:51], 0 offset:136 ; 4-byte Folded Spill
	buffer_store_dword v15, off, s[48:51], 0 offset:140 ; 4-byte Folded Spill
	v_fma_f64 v[87:88], v[39:40], v[12:13], -v[9:10]
	global_load_dwordx4 v[12:15], v204, s[12:13]
	global_load_dwordx4 v[41:44], v[1:2], off
	v_add_co_u32 v1, vcc_lo, v1, s0
	v_add_co_ci_u32_e32 v2, vcc_lo, s1, v2, vcc_lo
	;; [unrolled: 13-line block ×4, first 2 shown]
	v_cmp_ne_u32_e32 vcc_lo, 0, v0
	s_mov_b32 s0, 0x93053d00
	s_mov_b32 s1, 0xbfef11f4
	v_cndmask_b32_e64 v227, 0, 0x1a0, vcc_lo
	v_cmp_gt_u64_e32 vcc_lo, 0xd0, v[169:170]
	v_or_b32_e32 v0, v227, v8
	v_lshlrev_b32_e32 v40, 4, v0
	s_waitcnt vmcnt(0)
	v_mul_f64 v[6:7], v[51:52], v[14:15]
	v_mul_f64 v[9:10], v[49:50], v[14:15]
	v_fma_f64 v[97:98], v[49:50], v[12:13], v[6:7]
	buffer_store_dword v12, off, s[48:51], 0 offset:176 ; 4-byte Folded Spill
	buffer_store_dword v13, off, s[48:51], 0 offset:180 ; 4-byte Folded Spill
	;; [unrolled: 1-line block ×4, first 2 shown]
	v_fma_f64 v[99:100], v[51:52], v[12:13], -v[9:10]
	global_load_dwordx4 v[101:104], v[1:2], off
	global_load_dwordx4 v[12:15], v224, s[12:13]
	v_lshl_or_b32 v9, v227, 4, v11
	s_waitcnt vmcnt(0)
	v_mul_f64 v[1:2], v[103:104], v[14:15]
	v_mul_f64 v[6:7], v[101:102], v[14:15]
	v_fma_f64 v[101:102], v[101:102], v[12:13], v[1:2]
	buffer_store_dword v12, off, s[48:51], 0 offset:192 ; 4-byte Folded Spill
	buffer_store_dword v13, off, s[48:51], 0 offset:196 ; 4-byte Folded Spill
	;; [unrolled: 1-line block ×4, first 2 shown]
	ds_write_b128 v40, v[57:60]
	ds_write_b128 v9, v[61:64] offset:512
	ds_write_b128 v9, v[65:68] offset:1024
	;; [unrolled: 1-line block ×11, first 2 shown]
	s_load_dwordx4 s[8:11], s[2:3], 0x0
	s_mov_b32 s2, 0xd0032e0c
	s_mov_b32 s3, 0xbfe7f3cc
	v_fma_f64 v[103:104], v[103:104], v[12:13], -v[6:7]
	ds_write_b128 v9, v[101:104] offset:6144
	s_waitcnt lgkmcnt(0)
	s_waitcnt_vscnt null, 0x0
	s_barrier
	buffer_gl0_inv
	ds_read_b128 v[53:56], v40
	ds_read_b128 v[57:60], v9 offset:512
	ds_read_b128 v[61:64], v9 offset:1024
	;; [unrolled: 1-line block ×7, first 2 shown]
	s_waitcnt lgkmcnt(6)
	v_add_f64 v[0:1], v[53:54], v[57:58]
	v_add_f64 v[2:3], v[55:56], v[59:60]
	s_waitcnt lgkmcnt(0)
	v_add_f64 v[85:86], v[77:78], v[81:82]
	v_add_f64 v[87:88], v[79:80], v[83:84]
	v_add_f64 v[93:94], v[77:78], -v[81:82]
	v_add_f64 v[95:96], v[79:80], -v[83:84]
	v_add_f64 v[0:1], v[0:1], v[61:62]
	v_add_f64 v[2:3], v[2:3], v[63:64]
	;; [unrolled: 1-line block ×12, first 2 shown]
	ds_read_b128 v[0:3], v9 offset:4096
	ds_read_b128 v[81:84], v9 offset:4608
	s_waitcnt lgkmcnt(1)
	v_add_f64 v[77:78], v[73:74], v[0:1]
	v_add_f64 v[79:80], v[75:76], v[2:3]
	v_add_f64 v[101:102], v[73:74], -v[0:1]
	v_add_f64 v[103:104], v[75:76], -v[2:3]
	v_add_f64 v[0:1], v[6:7], v[0:1]
	v_add_f64 v[2:3], v[12:13], v[2:3]
	s_waitcnt lgkmcnt(0)
	v_add_f64 v[73:74], v[69:70], v[81:82]
	v_add_f64 v[75:76], v[71:72], v[83:84]
	v_add_f64 v[105:106], v[69:70], -v[81:82]
	v_add_f64 v[107:108], v[71:72], -v[83:84]
	v_mul_f64 v[161:162], v[101:102], s[36:37]
	v_mul_f64 v[159:160], v[103:104], s[36:37]
	v_add_f64 v[6:7], v[0:1], v[81:82]
	v_add_f64 v[12:13], v[2:3], v[83:84]
	ds_read_b128 v[0:3], v9 offset:5120
	ds_read_b128 v[69:72], v9 offset:5632
	v_mul_f64 v[157:158], v[105:106], s[38:39]
	s_waitcnt lgkmcnt(1)
	v_add_f64 v[81:82], v[65:66], v[0:1]
	v_add_f64 v[83:84], v[67:68], v[2:3]
	v_add_f64 v[115:116], v[65:66], -v[0:1]
	v_add_f64 v[123:124], v[67:68], -v[2:3]
	v_add_f64 v[0:1], v[6:7], v[0:1]
	v_add_f64 v[2:3], v[12:13], v[2:3]
	s_waitcnt lgkmcnt(0)
	v_add_f64 v[89:90], v[61:62], v[69:70]
	v_add_f64 v[91:92], v[63:64], v[71:72]
	v_add_f64 v[125:126], v[61:62], -v[69:70]
	v_add_f64 v[127:128], v[63:64], -v[71:72]
	v_add_f64 v[6:7], v[0:1], v[69:70]
	v_add_f64 v[12:13], v[2:3], v[71:72]
	ds_read_b128 v[0:3], v9 offset:6144
	s_waitcnt lgkmcnt(0)
	s_barrier
	buffer_gl0_inv
	v_add_f64 v[14:15], v[59:60], -v[2:3]
	v_add_f64 v[16:17], v[57:58], v[0:1]
	v_add_f64 v[18:19], v[59:60], v[2:3]
	v_add_f64 v[20:21], v[57:58], -v[0:1]
	v_add_f64 v[57:58], v[6:7], v[0:1]
	v_add_f64 v[59:60], v[12:13], v[2:3]
	v_mul_f64 v[0:1], v[14:15], s[26:27]
	v_mul_f64 v[2:3], v[14:15], s[28:29]
	;; [unrolled: 1-line block ×10, first 2 shown]
	v_fma_f64 v[24:25], v[16:17], s[20:21], -v[0:1]
	v_fma_f64 v[0:1], v[16:17], s[20:21], v[0:1]
	v_fma_f64 v[26:27], v[16:17], s[18:19], -v[2:3]
	v_fma_f64 v[2:3], v[16:17], s[18:19], v[2:3]
	;; [unrolled: 2-line block ×6, first 2 shown]
	v_mul_f64 v[16:17], v[20:21], s[26:27]
	v_mul_f64 v[20:21], v[20:21], s[30:31]
	v_fma_f64 v[111:112], v[18:19], s[18:19], v[69:70]
	v_fma_f64 v[69:70], v[18:19], s[18:19], -v[69:70]
	v_fma_f64 v[113:114], v[18:19], s[16:17], v[71:72]
	v_fma_f64 v[71:72], v[18:19], s[16:17], -v[71:72]
	;; [unrolled: 2-line block ×4, first 2 shown]
	s_mov_b32 s27, 0x3fddbe06
	v_add_f64 v[97:98], v[53:54], v[0:1]
	v_mul_f64 v[163:164], v[95:96], s[26:27]
	v_add_f64 v[137:138], v[53:54], v[2:3]
	v_add_f64 v[141:142], v[53:54], v[61:62]
	;; [unrolled: 1-line block ×8, first 2 shown]
	v_fma_f64 v[109:110], v[18:19], s[20:21], v[16:17]
	v_fma_f64 v[16:17], v[18:19], s[20:21], -v[16:17]
	v_fma_f64 v[131:132], v[18:19], s[0:1], v[20:21]
	v_fma_f64 v[18:19], v[18:19], s[0:1], -v[20:21]
	v_add_f64 v[20:21], v[53:54], v[24:25]
	v_add_f64 v[139:140], v[55:56], v[69:70]
	v_add_f64 v[143:144], v[55:56], v[113:114]
	v_add_f64 v[145:146], v[55:56], v[71:72]
	v_add_f64 v[149:150], v[55:56], v[117:118]
	v_add_f64 v[151:152], v[55:56], v[119:120]
	v_add_f64 v[155:156], v[55:56], v[121:122]
	v_add_f64 v[0:1], v[55:56], v[129:130]
	v_mul_f64 v[113:114], v[107:108], s[22:23]
	v_mul_f64 v[117:118], v[105:106], s[22:23]
	;; [unrolled: 1-line block ×4, first 2 shown]
	v_add_f64 v[24:25], v[55:56], v[109:110]
	v_add_f64 v[99:100], v[55:56], v[16:17]
	;; [unrolled: 1-line block ×5, first 2 shown]
	v_mul_f64 v[53:54], v[127:128], s[28:29]
	v_add_f64 v[26:27], v[55:56], v[111:112]
	v_add_f64 v[129:130], v[55:56], v[18:19]
	v_mul_f64 v[55:56], v[125:126], s[28:29]
	v_mul_f64 v[109:110], v[123:124], s[34:35]
	;; [unrolled: 1-line block ×3, first 2 shown]
	v_fma_f64 v[14:15], v[89:90], s[18:19], -v[53:54]
	v_fma_f64 v[18:19], v[91:92], s[18:19], v[55:56]
	v_add_f64 v[14:15], v[14:15], v[20:21]
	v_fma_f64 v[20:21], v[81:82], s[16:17], -v[109:110]
	v_add_f64 v[18:19], v[18:19], v[24:25]
	v_add_f64 v[14:15], v[20:21], v[14:15]
	v_fma_f64 v[20:21], v[83:84], s[16:17], v[111:112]
	v_add_f64 v[18:19], v[20:21], v[18:19]
	v_fma_f64 v[20:21], v[73:74], s[6:7], -v[113:114]
	v_add_f64 v[14:15], v[20:21], v[14:15]
	v_fma_f64 v[20:21], v[75:76], s[6:7], v[117:118]
	v_add_f64 v[18:19], v[20:21], v[18:19]
	v_fma_f64 v[20:21], v[77:78], s[2:3], -v[119:120]
	v_add_f64 v[14:15], v[20:21], v[14:15]
	v_fma_f64 v[20:21], v[79:80], s[2:3], v[121:122]
	v_add_f64 v[18:19], v[20:21], v[18:19]
	v_mul_f64 v[20:21], v[95:96], s[30:31]
	v_fma_f64 v[22:23], v[85:86], s[0:1], -v[20:21]
	v_fma_f64 v[20:21], v[85:86], s[0:1], v[20:21]
	v_add_f64 v[61:62], v[22:23], v[14:15]
	v_mul_f64 v[14:15], v[93:94], s[30:31]
	v_fma_f64 v[22:23], v[87:88], s[0:1], v[14:15]
	v_fma_f64 v[14:15], v[87:88], s[0:1], -v[14:15]
	v_add_f64 v[63:64], v[22:23], v[18:19]
	v_mul_f64 v[18:19], v[127:128], s[22:23]
	v_fma_f64 v[22:23], v[89:90], s[6:7], -v[18:19]
	v_fma_f64 v[18:19], v[89:90], s[6:7], v[18:19]
	v_add_f64 v[16:17], v[22:23], v[16:17]
	v_mul_f64 v[22:23], v[125:126], s[22:23]
	v_add_f64 v[18:19], v[18:19], v[137:138]
	v_fma_f64 v[24:25], v[91:92], s[6:7], v[22:23]
	v_fma_f64 v[22:23], v[91:92], s[6:7], -v[22:23]
	v_add_f64 v[24:25], v[24:25], v[26:27]
	v_mul_f64 v[26:27], v[123:124], s[30:31]
	v_add_f64 v[22:23], v[22:23], v[139:140]
	v_fma_f64 v[65:66], v[81:82], s[0:1], -v[26:27]
	v_add_f64 v[16:17], v[65:66], v[16:17]
	v_mul_f64 v[65:66], v[115:116], s[30:31]
	v_fma_f64 v[67:68], v[83:84], s[0:1], v[65:66]
	v_add_f64 v[24:25], v[67:68], v[24:25]
	v_mul_f64 v[67:68], v[107:108], s[38:39]
	v_fma_f64 v[69:70], v[73:74], s[2:3], -v[67:68]
	v_add_f64 v[16:17], v[69:70], v[16:17]
	v_fma_f64 v[69:70], v[75:76], s[2:3], v[157:158]
	v_add_f64 v[24:25], v[69:70], v[24:25]
	v_fma_f64 v[69:70], v[77:78], s[16:17], -v[159:160]
	v_add_f64 v[16:17], v[69:70], v[16:17]
	v_fma_f64 v[69:70], v[79:80], s[16:17], v[161:162]
	v_add_f64 v[24:25], v[69:70], v[24:25]
	v_fma_f64 v[69:70], v[85:86], s[20:21], -v[163:164]
	v_add_f64 v[69:70], v[69:70], v[16:17]
	v_mul_f64 v[16:17], v[93:94], s[26:27]
	v_fma_f64 v[71:72], v[87:88], s[20:21], v[16:17]
	v_fma_f64 v[16:17], v[87:88], s[20:21], -v[16:17]
	v_add_f64 v[71:72], v[71:72], v[24:25]
	v_fma_f64 v[24:25], v[81:82], s[0:1], v[26:27]
	v_mul_f64 v[26:27], v[123:124], s[40:41]
	v_add_f64 v[18:19], v[24:25], v[18:19]
	v_fma_f64 v[24:25], v[83:84], s[0:1], -v[65:66]
	v_fma_f64 v[137:138], v[81:82], s[6:7], -v[26:27]
	v_add_f64 v[22:23], v[24:25], v[22:23]
	v_fma_f64 v[24:25], v[73:74], s[2:3], v[67:68]
	v_add_f64 v[18:19], v[24:25], v[18:19]
	v_fma_f64 v[24:25], v[75:76], s[2:3], -v[157:158]
	v_mul_f64 v[157:158], v[105:106], s[26:27]
	v_add_f64 v[22:23], v[24:25], v[22:23]
	v_fma_f64 v[24:25], v[77:78], s[16:17], v[159:160]
	v_mul_f64 v[159:160], v[103:104], s[28:29]
	v_add_f64 v[18:19], v[24:25], v[18:19]
	v_fma_f64 v[24:25], v[79:80], s[16:17], -v[161:162]
	v_mul_f64 v[161:162], v[101:102], s[28:29]
	v_add_f64 v[22:23], v[24:25], v[22:23]
	v_fma_f64 v[24:25], v[85:86], s[20:21], v[163:164]
	v_mul_f64 v[163:164], v[95:96], s[24:25]
	v_add_f64 v[67:68], v[16:17], v[22:23]
	v_mul_f64 v[16:17], v[127:128], s[30:31]
	v_add_f64 v[65:66], v[24:25], v[18:19]
	v_mul_f64 v[22:23], v[125:126], s[30:31]
	s_mov_b32 s31, 0x3fea55e2
	v_fma_f64 v[18:19], v[89:90], s[0:1], -v[16:17]
	v_fma_f64 v[16:17], v[89:90], s[0:1], v[16:17]
	v_fma_f64 v[24:25], v[91:92], s[0:1], v[22:23]
	v_add_f64 v[18:19], v[18:19], v[141:142]
	v_mul_f64 v[141:142], v[115:116], s[40:41]
	v_add_f64 v[24:25], v[24:25], v[143:144]
	v_mul_f64 v[143:144], v[107:108], s[26:27]
	v_add_f64 v[6:7], v[16:17], v[6:7]
	v_fma_f64 v[16:17], v[91:92], s[0:1], -v[22:23]
	v_fma_f64 v[22:23], v[81:82], s[6:7], v[26:27]
	v_add_f64 v[18:19], v[137:138], v[18:19]
	v_fma_f64 v[137:138], v[83:84], s[6:7], v[141:142]
	v_add_f64 v[16:17], v[16:17], v[145:146]
	v_add_f64 v[6:7], v[22:23], v[6:7]
	v_fma_f64 v[22:23], v[83:84], s[6:7], -v[141:142]
	v_add_f64 v[24:25], v[137:138], v[24:25]
	v_fma_f64 v[137:138], v[73:74], s[20:21], -v[143:144]
	v_add_f64 v[16:17], v[22:23], v[16:17]
	v_fma_f64 v[22:23], v[73:74], s[20:21], v[143:144]
	v_add_f64 v[18:19], v[137:138], v[18:19]
	v_fma_f64 v[137:138], v[75:76], s[20:21], v[157:158]
	v_add_f64 v[6:7], v[22:23], v[6:7]
	v_fma_f64 v[22:23], v[75:76], s[20:21], -v[157:158]
	v_mul_f64 v[157:158], v[105:106], s[34:35]
	v_add_f64 v[24:25], v[137:138], v[24:25]
	v_fma_f64 v[137:138], v[77:78], s[18:19], -v[159:160]
	v_add_f64 v[16:17], v[22:23], v[16:17]
	v_fma_f64 v[22:23], v[77:78], s[18:19], v[159:160]
	v_add_f64 v[18:19], v[137:138], v[18:19]
	v_fma_f64 v[137:138], v[79:80], s[18:19], v[161:162]
	v_add_f64 v[6:7], v[22:23], v[6:7]
	v_fma_f64 v[22:23], v[79:80], s[18:19], -v[161:162]
	v_add_f64 v[24:25], v[137:138], v[24:25]
	v_fma_f64 v[137:138], v[85:86], s[2:3], -v[163:164]
	v_add_f64 v[16:17], v[22:23], v[16:17]
	v_fma_f64 v[22:23], v[85:86], s[2:3], v[163:164]
	v_add_f64 v[137:138], v[137:138], v[18:19]
	v_mul_f64 v[18:19], v[93:94], s[24:25]
	v_add_f64 v[141:142], v[22:23], v[6:7]
	v_mul_f64 v[6:7], v[127:128], s[38:39]
	v_fma_f64 v[139:140], v[87:88], s[2:3], v[18:19]
	v_fma_f64 v[18:19], v[87:88], s[2:3], -v[18:19]
	v_add_f64 v[139:140], v[139:140], v[24:25]
	v_add_f64 v[143:144], v[18:19], v[16:17]
	v_fma_f64 v[16:17], v[89:90], s[2:3], -v[6:7]
	v_mul_f64 v[24:25], v[123:124], s[26:27]
	v_mul_f64 v[18:19], v[125:126], s[38:39]
	v_fma_f64 v[6:7], v[89:90], s[2:3], v[6:7]
	v_add_f64 v[16:17], v[16:17], v[147:148]
	v_fma_f64 v[26:27], v[81:82], s[20:21], -v[24:25]
	v_fma_f64 v[22:23], v[91:92], s[2:3], v[18:19]
	v_add_f64 v[6:7], v[6:7], v[12:13]
	v_fma_f64 v[12:13], v[91:92], s[2:3], -v[18:19]
	v_fma_f64 v[18:19], v[81:82], s[20:21], v[24:25]
	v_add_f64 v[16:17], v[26:27], v[16:17]
	v_mul_f64 v[26:27], v[115:116], s[26:27]
	v_add_f64 v[22:23], v[22:23], v[149:150]
	v_mul_f64 v[149:150], v[107:108], s[34:35]
	v_add_f64 v[12:13], v[12:13], v[151:152]
	v_add_f64 v[6:7], v[18:19], v[6:7]
	s_mov_b32 s35, 0x3fcea1e5
	s_mov_b32 s34, s30
	;; [unrolled: 1-line block ×3, first 2 shown]
	v_mul_f64 v[159:160], v[103:104], s[34:35]
	v_mul_f64 v[161:162], v[101:102], s[34:35]
	;; [unrolled: 1-line block ×3, first 2 shown]
	v_fma_f64 v[145:146], v[83:84], s[20:21], v[26:27]
	v_fma_f64 v[18:19], v[83:84], s[20:21], -v[26:27]
	v_add_f64 v[22:23], v[145:146], v[22:23]
	v_fma_f64 v[145:146], v[73:74], s[16:17], -v[149:150]
	v_add_f64 v[12:13], v[18:19], v[12:13]
	v_fma_f64 v[18:19], v[73:74], s[16:17], v[149:150]
	v_add_f64 v[16:17], v[145:146], v[16:17]
	v_fma_f64 v[145:146], v[75:76], s[16:17], v[157:158]
	v_add_f64 v[6:7], v[18:19], v[6:7]
	v_fma_f64 v[18:19], v[75:76], s[16:17], -v[157:158]
	v_mul_f64 v[157:158], v[105:106], s[34:35]
	v_mul_f64 v[105:106], v[105:106], s[30:31]
	v_add_f64 v[22:23], v[145:146], v[22:23]
	v_fma_f64 v[145:146], v[77:78], s[0:1], -v[159:160]
	v_add_f64 v[12:13], v[18:19], v[12:13]
	v_fma_f64 v[18:19], v[77:78], s[0:1], v[159:160]
	v_mul_f64 v[159:160], v[103:104], s[26:27]
	v_mul_f64 v[103:104], v[103:104], s[22:23]
	v_add_f64 v[16:17], v[145:146], v[16:17]
	v_fma_f64 v[145:146], v[79:80], s[0:1], v[161:162]
	v_add_f64 v[6:7], v[18:19], v[6:7]
	v_fma_f64 v[18:19], v[79:80], s[0:1], -v[161:162]
	v_mul_f64 v[161:162], v[101:102], s[26:27]
	v_mul_f64 v[101:102], v[101:102], s[22:23]
	v_add_f64 v[22:23], v[145:146], v[22:23]
	v_fma_f64 v[145:146], v[85:86], s[18:19], -v[163:164]
	v_add_f64 v[12:13], v[18:19], v[12:13]
	v_fma_f64 v[18:19], v[85:86], s[18:19], v[163:164]
	v_mul_f64 v[163:164], v[95:96], s[22:23]
	v_add_f64 v[145:146], v[145:146], v[16:17]
	v_mul_f64 v[16:17], v[93:94], s[30:31]
	v_add_f64 v[149:150], v[18:19], v[6:7]
	v_mul_f64 v[6:7], v[127:128], s[36:37]
	v_fma_f64 v[147:148], v[87:88], s[18:19], v[16:17]
	v_fma_f64 v[16:17], v[87:88], s[18:19], -v[16:17]
	v_add_f64 v[147:148], v[147:148], v[22:23]
	v_add_f64 v[151:152], v[16:17], v[12:13]
	v_fma_f64 v[12:13], v[89:90], s[16:17], -v[6:7]
	v_mul_f64 v[22:23], v[123:124], s[28:29]
	v_mul_f64 v[16:17], v[125:126], s[36:37]
	v_fma_f64 v[6:7], v[89:90], s[16:17], v[6:7]
	v_add_f64 v[12:13], v[12:13], v[153:154]
	v_fma_f64 v[24:25], v[81:82], s[18:19], -v[22:23]
	v_fma_f64 v[18:19], v[91:92], s[16:17], v[16:17]
	v_add_f64 v[2:3], v[6:7], v[2:3]
	v_fma_f64 v[6:7], v[91:92], s[16:17], -v[16:17]
	v_mul_f64 v[16:17], v[125:126], s[26:27]
	v_add_f64 v[12:13], v[24:25], v[12:13]
	v_mul_f64 v[24:25], v[115:116], s[28:29]
	v_add_f64 v[18:19], v[18:19], v[155:156]
	v_add_f64 v[0:1], v[6:7], v[0:1]
	v_fma_f64 v[6:7], v[81:82], s[18:19], v[22:23]
	v_mul_f64 v[22:23], v[123:124], s[24:25]
	v_fma_f64 v[26:27], v[83:84], s[18:19], v[24:25]
	v_add_f64 v[2:3], v[6:7], v[2:3]
	v_fma_f64 v[6:7], v[83:84], s[18:19], -v[24:25]
	v_fma_f64 v[24:25], v[81:82], s[2:3], -v[22:23]
	v_add_f64 v[18:19], v[26:27], v[18:19]
	v_mul_f64 v[26:27], v[107:108], s[34:35]
	v_add_f64 v[0:1], v[6:7], v[0:1]
	v_fma_f64 v[153:154], v[73:74], s[0:1], -v[26:27]
	v_fma_f64 v[6:7], v[73:74], s[0:1], v[26:27]
	v_add_f64 v[12:13], v[153:154], v[12:13]
	v_fma_f64 v[153:154], v[75:76], s[0:1], v[157:158]
	v_add_f64 v[2:3], v[6:7], v[2:3]
	v_fma_f64 v[6:7], v[75:76], s[0:1], -v[157:158]
	v_add_f64 v[18:19], v[153:154], v[18:19]
	v_fma_f64 v[153:154], v[77:78], s[20:21], -v[159:160]
	v_add_f64 v[0:1], v[6:7], v[0:1]
	v_fma_f64 v[6:7], v[77:78], s[20:21], v[159:160]
	v_add_f64 v[12:13], v[153:154], v[12:13]
	v_fma_f64 v[153:154], v[79:80], s[20:21], v[161:162]
	v_add_f64 v[2:3], v[6:7], v[2:3]
	v_fma_f64 v[6:7], v[79:80], s[20:21], -v[161:162]
	v_add_f64 v[18:19], v[153:154], v[18:19]
	v_fma_f64 v[153:154], v[85:86], s[6:7], -v[163:164]
	v_add_f64 v[6:7], v[6:7], v[0:1]
	v_fma_f64 v[0:1], v[85:86], s[6:7], v[163:164]
	v_add_f64 v[153:154], v[153:154], v[12:13]
	v_mul_f64 v[12:13], v[93:94], s[22:23]
	v_add_f64 v[0:1], v[0:1], v[2:3]
	v_fma_f64 v[155:156], v[87:88], s[6:7], v[12:13]
	v_fma_f64 v[12:13], v[87:88], s[6:7], -v[12:13]
	v_add_f64 v[155:156], v[155:156], v[18:19]
	v_add_f64 v[2:3], v[12:13], v[6:7]
	v_mul_f64 v[6:7], v[127:128], s[26:27]
	v_fma_f64 v[18:19], v[91:92], s[20:21], v[16:17]
	v_fma_f64 v[12:13], v[89:90], s[20:21], -v[6:7]
	v_add_f64 v[18:19], v[18:19], v[133:134]
	v_fma_f64 v[6:7], v[89:90], s[20:21], v[6:7]
                                        ; implicit-def: $vgpr133_vgpr134
	v_add_f64 v[12:13], v[12:13], v[135:136]
	v_add_f64 v[6:7], v[6:7], v[131:132]
	;; [unrolled: 1-line block ×3, first 2 shown]
	v_mul_f64 v[24:25], v[115:116], s[24:25]
	v_mul_f64 v[115:116], v[93:94], s[36:37]
	v_fma_f64 v[26:27], v[83:84], s[2:3], v[24:25]
	v_add_f64 v[18:19], v[26:27], v[18:19]
	v_mul_f64 v[26:27], v[107:108], s[30:31]
	v_fma_f64 v[107:108], v[73:74], s[18:19], -v[26:27]
	v_add_f64 v[12:13], v[107:108], v[12:13]
	v_fma_f64 v[107:108], v[75:76], s[18:19], v[105:106]
	v_add_f64 v[18:19], v[107:108], v[18:19]
	v_fma_f64 v[107:108], v[77:78], s[6:7], -v[103:104]
	v_add_f64 v[12:13], v[107:108], v[12:13]
	v_fma_f64 v[107:108], v[79:80], s[6:7], v[101:102]
	v_add_f64 v[18:19], v[107:108], v[18:19]
	v_mul_f64 v[107:108], v[95:96], s[36:37]
	v_fma_f64 v[93:94], v[85:86], s[16:17], -v[107:108]
	v_add_f64 v[93:94], v[93:94], v[12:13]
	v_fma_f64 v[12:13], v[87:88], s[16:17], v[115:116]
	v_add_f64 v[95:96], v[12:13], v[18:19]
	v_fma_f64 v[12:13], v[91:92], s[20:21], -v[16:17]
	v_fma_f64 v[16:17], v[81:82], s[2:3], v[22:23]
	v_fma_f64 v[18:19], v[87:88], s[16:17], -v[115:116]
	v_fma_f64 v[22:23], v[73:74], s[6:7], v[113:114]
	v_add_f64 v[12:13], v[12:13], v[129:130]
	v_add_f64 v[6:7], v[16:17], v[6:7]
	v_fma_f64 v[16:17], v[83:84], s[2:3], -v[24:25]
	v_fma_f64 v[24:25], v[75:76], s[6:7], -v[117:118]
	v_add_f64 v[12:13], v[16:17], v[12:13]
	v_fma_f64 v[16:17], v[73:74], s[18:19], v[26:27]
	v_add_f64 v[6:7], v[16:17], v[6:7]
	v_fma_f64 v[16:17], v[75:76], s[18:19], -v[105:106]
	v_add_f64 v[12:13], v[16:17], v[12:13]
	v_fma_f64 v[16:17], v[77:78], s[6:7], v[103:104]
	v_add_f64 v[6:7], v[16:17], v[6:7]
	;; [unrolled: 4-line block ×3, first 2 shown]
	v_add_f64 v[101:102], v[16:17], v[6:7]
	v_fma_f64 v[6:7], v[89:90], s[18:19], v[53:54]
	v_fma_f64 v[12:13], v[91:92], s[18:19], -v[55:56]
	v_fma_f64 v[16:17], v[81:82], s[16:17], v[109:110]
	v_fma_f64 v[18:19], v[83:84], s[16:17], -v[111:112]
	v_add_f64 v[6:7], v[6:7], v[97:98]
	v_add_f64 v[12:13], v[12:13], v[99:100]
	;; [unrolled: 1-line block ×4, first 2 shown]
	v_fma_f64 v[16:17], v[77:78], s[2:3], v[119:120]
	v_fma_f64 v[18:19], v[79:80], s[2:3], -v[121:122]
	s_load_dwordx2 s[2:3], s[4:5], 0x38
	v_add_f64 v[6:7], v[22:23], v[6:7]
	v_add_f64 v[12:13], v[24:25], v[12:13]
	;; [unrolled: 1-line block ×6, first 2 shown]
	v_mul_u32_u24_e32 v6, 13, v8
	v_add_lshl_u32 v12, v227, v6, 4
	ds_write_b128 v12, v[61:64] offset:16
	ds_write_b128 v12, v[69:72] offset:32
	;; [unrolled: 1-line block ×11, first 2 shown]
	ds_write_b128 v12, v[57:60]
	ds_write_b128 v12, v[53:56] offset:192
	s_waitcnt lgkmcnt(0)
	s_barrier
	buffer_gl0_inv
	ds_read_b128 v[85:88], v40
	ds_read_b128 v[89:92], v9 offset:512
	ds_read_b128 v[117:120], v9 offset:3328
	;; [unrolled: 1-line block ×11, first 2 shown]
	s_and_saveexec_b32 s0, vcc_lo
	s_cbranch_execz .LBB0_3
; %bb.2:
	ds_read_b128 v[53:56], v9 offset:3072
	ds_read_b128 v[133:136], v9 offset:6400
.LBB0_3:
	s_or_b32 exec_lo, exec_lo, s0
	v_or_b32_e32 v0, 32, v8
	v_mul_lo_u16 v1, v8, 20
	v_or_b32_e32 v3, 64, v8
	v_mul_lo_u16 v10, 0x4f, v4
	;; [unrolled: 2-line block ×3, first 2 shown]
	v_lshrrev_b16 v29, 8, v1
	v_mul_lo_u16 v1, 0x4f, v3
	v_lshrrev_b16 v10, 10, v10
	v_mul_lo_u16 v13, 0x4f, v5
	;; [unrolled: 2-line block ×4, first 2 shown]
	v_mul_lo_u16 v15, v29, 13
	v_mul_lo_u16 v16, v30, 13
	;; [unrolled: 1-line block ×3, first 2 shown]
	v_lshrrev_b16 v33, 10, v7
	v_lshrrev_b16 v32, 10, v13
	v_mov_b32_e32 v2, 4
	v_sub_nc_u16 v35, v0, v16
	v_mul_lo_u16 v0, v31, 13
	v_sub_nc_u16 v34, v8, v15
	v_sub_nc_u16 v37, v4, v1
	v_lshrrev_b16 v4, 10, v14
	v_mul_lo_u16 v7, v33, 13
	v_sub_nc_u16 v36, v3, v0
	v_mul_lo_u16 v0, v32, 13
	v_lshlrev_b32_sdwa v13, v2, v34 dst_sel:DWORD dst_unused:UNUSED_PAD src0_sel:DWORD src1_sel:BYTE_0
	buffer_store_dword v4, off, s[48:51], 0 offset:212 ; 4-byte Folded Spill
	v_mul_lo_u16 v4, v4, 13
	v_sub_nc_u16 v38, v6, v7
	v_lshlrev_b32_sdwa v3, v2, v37 dst_sel:DWORD dst_unused:UNUSED_PAD src0_sel:DWORD src1_sel:BYTE_0
	v_sub_nc_u16 v39, v5, v0
	v_lshlrev_b32_sdwa v15, v2, v35 dst_sel:DWORD dst_unused:UNUSED_PAD src0_sel:DWORD src1_sel:BYTE_0
	v_lshlrev_b32_sdwa v1, v2, v36 dst_sel:DWORD dst_unused:UNUSED_PAD src0_sel:DWORD src1_sel:BYTE_0
	s_clause 0x1
	global_load_dwordx4 v[69:72], v13, s[14:15]
	global_load_dwordx4 v[57:60], v3, s[14:15]
	v_sub_nc_u16 v3, v169, v4
	v_lshlrev_b32_sdwa v6, v2, v38 dst_sel:DWORD dst_unused:UNUSED_PAD src0_sel:DWORD src1_sel:BYTE_0
	v_lshlrev_b32_sdwa v0, v2, v39 dst_sel:DWORD dst_unused:UNUSED_PAD src0_sel:DWORD src1_sel:BYTE_0
	s_clause 0x2
	global_load_dwordx4 v[77:80], v15, s[14:15]
	global_load_dwordx4 v[81:84], v1, s[14:15]
	global_load_dwordx4 v[73:76], v6, s[14:15]
	v_lshlrev_b32_sdwa v1, v2, v3 dst_sel:DWORD dst_unused:UNUSED_PAD src0_sel:DWORD src1_sel:BYTE_0
	buffer_store_dword v3, off, s[48:51], 0 offset:216 ; 4-byte Folded Spill
	s_clause 0x1
	global_load_dwordx4 v[65:68], v0, s[14:15]
	global_load_dwordx4 v[61:64], v1, s[14:15]
	v_mul_lo_u16 v31, v31, 26
	v_mad_u16 v29, v29, 26, v34
	s_waitcnt vmcnt(0) lgkmcnt(0)
	s_waitcnt_vscnt null, 0x0
	s_barrier
	buffer_gl0_inv
	v_mul_f64 v[0:1], v[119:120], v[71:72]
	v_mul_f64 v[2:3], v[117:118], v[71:72]
	;; [unrolled: 1-line block ×14, first 2 shown]
	v_fma_f64 v[117:118], v[117:118], v[69:70], -v[0:1]
	v_fma_f64 v[1:2], v[119:120], v[69:70], v[2:3]
	v_fma_f64 v[3:4], v[129:130], v[57:58], -v[4:5]
	v_fma_f64 v[23:24], v[131:132], v[57:58], v[23:24]
	v_mov_b32_e32 v0, 26
	v_fma_f64 v[5:6], v[109:110], v[77:78], -v[6:7]
	v_fma_f64 v[13:14], v[111:112], v[77:78], v[13:14]
	v_fma_f64 v[15:16], v[121:122], v[81:82], -v[15:16]
	v_fma_f64 v[17:18], v[123:124], v[81:82], v[17:18]
	;; [unrolled: 2-line block ×5, first 2 shown]
	v_mul_u32_u24_sdwa v7, v10, v0 dst_sel:DWORD dst_unused:UNUSED_PAD src0_sel:WORD_0 src1_sel:DWORD
	v_mul_u32_u24_sdwa v10, v32, v0 dst_sel:DWORD dst_unused:UNUSED_PAD src0_sel:WORD_0 src1_sel:DWORD
	v_add_f64 v[113:114], v[85:86], -v[117:118]
	v_add_f64 v[115:116], v[87:88], -v[1:2]
	;; [unrolled: 1-line block ×4, first 2 shown]
	v_mul_u32_u24_sdwa v1, v33, v0 dst_sel:DWORD dst_unused:UNUSED_PAD src0_sel:WORD_0 src1_sel:DWORD
	v_add_f64 v[161:162], v[89:90], -v[5:6]
	v_add_f64 v[163:164], v[91:92], -v[13:14]
	;; [unrolled: 1-line block ×10, first 2 shown]
	v_add_nc_u32_sdwa v2, v7, v37 dst_sel:DWORD dst_unused:UNUSED_PAD src0_sel:DWORD src1_sel:BYTE_0
	v_mad_u16 v5, v30, 26, v35
	v_add_nc_u32_sdwa v3, v10, v39 dst_sel:DWORD dst_unused:UNUSED_PAD src0_sel:DWORD src1_sel:BYTE_0
	v_and_b32_e32 v4, 0xff, v29
	v_add_nc_u32_sdwa v6, v31, v36 dst_sel:DWORD dst_unused:UNUSED_PAD src0_sel:WORD_0 src1_sel:BYTE_0
	v_add_nc_u32_sdwa v1, v1, v38 dst_sel:DWORD dst_unused:UNUSED_PAD src0_sel:DWORD src1_sel:BYTE_0
	v_add_lshl_u32 v7, v227, v2, 4
	v_fma_f64 v[141:142], v[85:86], 2.0, -v[113:114]
	v_fma_f64 v[143:144], v[87:88], 2.0, -v[115:116]
	;; [unrolled: 1-line block ×4, first 2 shown]
	v_and_b32_e32 v2, 0xff, v5
	v_fma_f64 v[85:86], v[89:90], 2.0, -v[161:162]
	v_fma_f64 v[87:88], v[91:92], 2.0, -v[163:164]
	;; [unrolled: 1-line block ×10, first 2 shown]
	v_add_lshl_u32 v3, v227, v3, 4
	v_add_lshl_u32 v5, v227, v4, 4
	;; [unrolled: 1-line block ×5, first 2 shown]
	ds_write_b128 v5, v[113:116] offset:208
	buffer_store_dword v5, off, s[48:51], 0 offset:240 ; 4-byte Folded Spill
	ds_write_b128 v5, v[141:144]
	ds_write_b128 v4, v[161:164] offset:208
	buffer_store_dword v4, off, s[48:51], 0 offset:236 ; 4-byte Folded Spill
	ds_write_b128 v4, v[85:88]
	ds_write_b128 v2, v[165:168]
	buffer_store_dword v2, off, s[48:51], 0 offset:232 ; 4-byte Folded Spill
	ds_write_b128 v2, v[109:112] offset:208
	ds_write_b128 v1, v[153:156]
	buffer_store_dword v1, off, s[48:51], 0 offset:228 ; 4-byte Folded Spill
	ds_write_b128 v1, v[125:128] offset:208
	;; [unrolled: 3-line block ×4, first 2 shown]
	s_and_saveexec_b32 s0, vcc_lo
	s_cbranch_execz .LBB0_5
; %bb.4:
	buffer_load_dword v1, off, s[48:51], 0 offset:212 ; 4-byte Folded Reload
	s_waitcnt vmcnt(0)
	v_mul_u32_u24_sdwa v0, v1, v0 dst_sel:DWORD dst_unused:UNUSED_PAD src0_sel:WORD_0 src1_sel:DWORD
	buffer_load_dword v1, off, s[48:51], 0 offset:216 ; 4-byte Folded Reload
	s_waitcnt vmcnt(0)
	v_add_nc_u32_sdwa v0, v0, v1 dst_sel:DWORD dst_unused:UNUSED_PAD src0_sel:DWORD src1_sel:BYTE_0
	v_add_lshl_u32 v0, v227, v0, 4
	ds_write_b128 v0, v[137:140]
	ds_write_b128 v0, v[133:136] offset:208
.LBB0_5:
	s_or_b32 exec_lo, exec_lo, s0
	v_cmp_gt_u32_e64 s0, 26, v8
	s_waitcnt lgkmcnt(0)
	s_waitcnt_vscnt null, 0x0
	s_barrier
	buffer_gl0_inv
                                        ; implicit-def: $vgpr145_vgpr146
                                        ; implicit-def: $vgpr149_vgpr150
	s_and_saveexec_b32 s1, s0
	s_cbranch_execz .LBB0_7
; %bb.6:
	ds_read_b128 v[141:144], v40
	ds_read_b128 v[113:116], v9 offset:416
	ds_read_b128 v[85:88], v9 offset:832
	;; [unrolled: 1-line block ×15, first 2 shown]
.LBB0_7:
	s_or_b32 exec_lo, exec_lo, s1
	v_subrev_nc_u32_e32 v0, 26, v8
	s_mov_b32 s4, 0x667f3bcd
	s_mov_b32 s5, 0xbfe6a09e
	;; [unrolled: 1-line block ×4, first 2 shown]
	v_cndmask_b32_e64 v0, v0, v8, s0
	s_mov_b32 s16, 0xa6aea964
	s_mov_b32 s17, 0x3fd87de2
	;; [unrolled: 1-line block ×4, first 2 shown]
	v_mul_i32_i24_e32 v1, 0xf0, v0
	v_mul_hi_i32_i24_e32 v0, 0xf0, v0
	s_mov_b32 s20, s16
	v_add_co_u32 v2, s1, s14, v1
	v_add_co_ci_u32_e64 v3, s1, s15, v0, s1
	s_mov_b32 s14, 0xcf328d46
	s_mov_b32 s15, 0xbfed906b
	;; [unrolled: 1-line block ×3, first 2 shown]
	s_clause 0x1
	global_load_dwordx4 v[53:56], v[2:3], off offset:208
	global_load_dwordx4 v[93:96], v[2:3], off offset:224
	s_waitcnt vmcnt(1) lgkmcnt(14)
	v_mul_f64 v[0:1], v[115:116], v[55:56]
	v_fma_f64 v[170:171], v[113:114], v[53:54], -v[0:1]
	v_mul_f64 v[0:1], v[113:114], v[55:56]
	v_fma_f64 v[172:173], v[115:116], v[53:54], v[0:1]
	s_waitcnt vmcnt(0) lgkmcnt(13)
	v_mul_f64 v[0:1], v[87:88], v[95:96]
	v_fma_f64 v[13:14], v[85:86], v[93:94], -v[0:1]
	v_mul_f64 v[0:1], v[85:86], v[95:96]
	v_fma_f64 v[15:16], v[87:88], v[93:94], v[0:1]
	s_clause 0x5
	global_load_dwordx4 v[89:92], v[2:3], off offset:240
	global_load_dwordx4 v[85:88], v[2:3], off offset:256
	;; [unrolled: 1-line block ×6, first 2 shown]
	s_waitcnt vmcnt(5) lgkmcnt(12)
	v_mul_f64 v[4:5], v[161:162], v[91:92]
	v_mul_f64 v[0:1], v[163:164], v[91:92]
	s_waitcnt vmcnt(0) lgkmcnt(7)
	v_mul_f64 v[6:7], v[157:158], v[103:104]
	v_fma_f64 v[17:18], v[163:164], v[89:90], v[4:5]
	v_mul_f64 v[4:5], v[167:168], v[87:88]
	v_fma_f64 v[0:1], v[161:162], v[89:90], -v[0:1]
	v_fma_f64 v[6:7], v[159:160], v[101:102], v[6:7]
	v_fma_f64 v[19:20], v[165:166], v[85:86], -v[4:5]
	v_mul_f64 v[4:5], v[165:166], v[87:88]
	v_add_f64 v[186:187], v[143:144], -v[6:7]
	v_fma_f64 v[21:22], v[167:168], v[85:86], v[4:5]
	v_mul_f64 v[4:5], v[111:112], v[99:100]
	v_fma_f64 v[6:7], v[143:144], 2.0, -v[186:187]
	v_fma_f64 v[23:24], v[109:110], v[97:98], -v[4:5]
	v_mul_f64 v[4:5], v[109:110], v[99:100]
	v_fma_f64 v[25:26], v[111:112], v[97:98], v[4:5]
	v_mul_f64 v[4:5], v[155:156], v[115:116]
	v_fma_f64 v[27:28], v[153:154], v[113:114], -v[4:5]
	v_mul_f64 v[4:5], v[153:154], v[115:116]
	v_fma_f64 v[153:154], v[155:156], v[113:114], v[4:5]
	v_mul_f64 v[4:5], v[127:128], v[107:108]
	v_fma_f64 v[163:164], v[125:126], v[105:106], -v[4:5]
	v_mul_f64 v[4:5], v[125:126], v[107:108]
	v_fma_f64 v[167:168], v[127:128], v[105:106], v[4:5]
	s_clause 0x1
	global_load_dwordx4 v[109:112], v[2:3], off offset:336
	global_load_dwordx4 v[125:128], v[2:3], off offset:352
	v_mul_f64 v[4:5], v[159:160], v[103:104]
	v_fma_f64 v[4:5], v[157:158], v[101:102], -v[4:5]
	s_waitcnt vmcnt(1) lgkmcnt(6)
	v_mul_f64 v[155:156], v[119:120], v[111:112]
	v_fma_f64 v[157:158], v[117:118], v[109:110], -v[155:156]
	v_mul_f64 v[117:118], v[117:118], v[111:112]
	v_fma_f64 v[159:160], v[119:120], v[109:110], v[117:118]
	s_waitcnt vmcnt(0) lgkmcnt(5)
	v_mul_f64 v[117:118], v[123:124], v[127:128]
	v_add_f64 v[159:160], v[172:173], -v[159:160]
	v_fma_f64 v[155:156], v[121:122], v[125:126], -v[117:118]
	v_mul_f64 v[117:118], v[121:122], v[127:128]
	v_fma_f64 v[208:209], v[172:173], 2.0, -v[159:160]
	v_add_f64 v[155:156], v[13:14], -v[155:156]
	v_fma_f64 v[161:162], v[123:124], v[125:126], v[117:118]
	s_clause 0x1
	global_load_dwordx4 v[121:124], v[2:3], off offset:368
	global_load_dwordx4 v[117:120], v[2:3], off offset:384
	s_waitcnt vmcnt(1) lgkmcnt(4)
	v_mul_f64 v[165:166], v[131:132], v[123:124]
	v_fma_f64 v[176:177], v[129:130], v[121:122], -v[165:166]
	v_mul_f64 v[129:130], v[129:130], v[123:124]
	v_fma_f64 v[178:179], v[131:132], v[121:122], v[129:130]
	s_waitcnt vmcnt(0) lgkmcnt(3)
	v_mul_f64 v[129:130], v[139:140], v[119:120]
	v_fma_f64 v[165:166], v[137:138], v[117:118], -v[129:130]
	v_mul_f64 v[129:130], v[137:138], v[119:120]
	v_fma_f64 v[174:175], v[139:140], v[117:118], v[129:130]
	s_clause 0x1
	global_load_dwordx4 v[129:132], v[2:3], off offset:400
	global_load_dwordx4 v[137:140], v[2:3], off offset:416
	s_waitcnt vmcnt(1) lgkmcnt(2)
	v_mul_f64 v[180:181], v[135:136], v[131:132]
	v_fma_f64 v[180:181], v[133:134], v[129:130], -v[180:181]
	v_mul_f64 v[133:134], v[133:134], v[131:132]
	v_fma_f64 v[182:183], v[135:136], v[129:130], v[133:134]
	s_waitcnt vmcnt(0) lgkmcnt(1)
	v_mul_f64 v[133:134], v[151:152], v[139:140]
	v_fma_f64 v[184:185], v[149:150], v[137:138], -v[133:134]
	v_mul_f64 v[133:134], v[149:150], v[139:140]
	v_fma_f64 v[149:150], v[151:152], v[137:138], v[133:134]
	global_load_dwordx4 v[133:136], v[2:3], off offset:432
	v_add_f64 v[143:144], v[153:154], -v[149:150]
	v_add_f64 v[149:150], v[15:16], -v[161:162]
	;; [unrolled: 1-line block ×3, first 2 shown]
	v_fma_f64 v[194:195], v[153:154], 2.0, -v[143:144]
	v_add_f64 v[143:144], v[155:156], -v[143:144]
	v_fma_f64 v[19:20], v[19:20], 2.0, -v[161:162]
	v_fma_f64 v[165:166], v[15:16], 2.0, -v[149:150]
	v_add_f64 v[161:162], v[186:187], v[161:162]
	v_add_f64 v[218:219], v[165:166], -v[194:195]
	s_waitcnt vmcnt(0) lgkmcnt(0)
	v_mul_f64 v[2:3], v[147:148], v[135:136]
	v_fma_f64 v[151:152], v[145:146], v[133:134], -v[2:3]
	v_mul_f64 v[2:3], v[145:146], v[135:136]
	v_fma_f64 v[145:146], v[147:148], v[133:134], v[2:3]
	v_add_f64 v[147:148], v[141:142], -v[4:5]
	v_add_f64 v[2:3], v[21:22], -v[174:175]
	v_fma_f64 v[174:175], v[13:14], 2.0, -v[155:156]
	v_fma_f64 v[13:14], v[155:156], 2.0, -v[143:144]
	v_add_f64 v[145:146], v[167:168], -v[145:146]
	v_fma_f64 v[4:5], v[141:142], 2.0, -v[147:148]
	v_add_f64 v[141:142], v[27:28], -v[184:185]
	;; [unrolled: 2-line block ×3, first 2 shown]
	v_fma_f64 v[202:203], v[167:168], 2.0, -v[145:146]
	v_fma_f64 v[27:28], v[27:28], 2.0, -v[141:142]
	v_add_f64 v[141:142], v[149:150], v[141:142]
	v_fma_f64 v[167:168], v[147:148], 2.0, -v[2:3]
	v_add_f64 v[192:193], v[6:7], -v[21:22]
	v_add_f64 v[210:211], v[174:175], -v[27:28]
	v_fma_f64 v[15:16], v[149:150], 2.0, -v[141:142]
	v_fma_f64 v[149:150], v[143:144], s[6:7], v[2:3]
	v_fma_f64 v[153:154], v[141:142], s[4:5], v[149:150]
	;; [unrolled: 1-line block ×3, first 2 shown]
	v_add_f64 v[149:150], v[170:171], -v[157:158]
	v_add_f64 v[157:158], v[0:1], -v[176:177]
	v_fma_f64 v[155:156], v[143:144], s[6:7], v[141:142]
	v_add_f64 v[141:142], v[25:26], -v[182:183]
	v_add_f64 v[143:144], v[163:164], -v[151:152]
	;; [unrolled: 1-line block ×4, first 2 shown]
	v_fma_f64 v[200:201], v[0:1], 2.0, -v[157:158]
	v_fma_f64 v[180:181], v[186:187], 2.0, -v[161:162]
	v_fma_f64 v[0:1], v[13:14], s[4:5], v[167:168]
	v_fma_f64 v[212:213], v[170:171], 2.0, -v[149:150]
	v_add_f64 v[170:171], v[4:5], -v[19:20]
	v_fma_f64 v[25:26], v[25:26], 2.0, -v[141:142]
	v_fma_f64 v[163:164], v[163:164], 2.0, -v[143:144]
	v_add_f64 v[176:177], v[149:150], -v[141:142]
	v_add_f64 v[141:142], v[151:152], v[143:144]
	v_add_f64 v[143:144], v[157:158], -v[145:146]
	v_fma_f64 v[23:24], v[23:24], 2.0, -v[178:179]
	v_fma_f64 v[184:185], v[17:18], 2.0, -v[151:152]
	v_add_f64 v[178:179], v[159:160], v[178:179]
	v_fma_f64 v[0:1], v[15:16], s[4:5], v[0:1]
	v_fma_f64 v[15:16], v[15:16], s[4:5], v[180:181]
	v_add_f64 v[198:199], v[208:209], -v[25:26]
	v_add_f64 v[214:215], v[200:201], -v[163:164]
	v_fma_f64 v[182:183], v[149:150], 2.0, -v[176:177]
	v_fma_f64 v[17:18], v[151:152], 2.0, -v[141:142]
	v_fma_f64 v[145:146], v[143:144], s[6:7], v[176:177]
	v_add_f64 v[194:195], v[212:213], -v[23:24]
	v_add_f64 v[216:217], v[184:185], -v[202:203]
	v_fma_f64 v[172:173], v[159:160], 2.0, -v[178:179]
	v_add_f64 v[159:160], v[170:171], -v[218:219]
	v_add_f64 v[163:164], v[192:193], v[210:211]
	v_add_f64 v[206:207], v[198:199], v[214:215]
	v_fma_f64 v[190:191], v[141:142], s[4:5], v[145:146]
	v_fma_f64 v[145:146], v[157:158], 2.0, -v[143:144]
	v_fma_f64 v[157:158], v[13:14], s[6:7], v[15:16]
	v_add_f64 v[202:203], v[194:195], -v[216:217]
	v_fma_f64 v[141:142], v[141:142], s[6:7], v[178:179]
	v_fma_f64 v[15:16], v[206:207], s[6:7], v[163:164]
	v_fma_f64 v[13:14], v[145:146], s[4:5], v[182:183]
	v_fma_f64 v[196:197], v[143:144], s[6:7], v[141:142]
	v_fma_f64 v[143:144], v[202:203], s[6:7], v[15:16]
	v_fma_f64 v[186:187], v[17:18], s[4:5], v[13:14]
	v_fma_f64 v[13:14], v[17:18], s[4:5], v[172:173]
	v_fma_f64 v[188:189], v[145:146], s[6:7], v[13:14]
	v_fma_f64 v[13:14], v[202:203], s[6:7], v[159:160]
	v_fma_f64 v[15:16], v[188:189], s[16:17], v[157:158]
	v_fma_f64 v[141:142], v[206:207], s[4:5], v[13:14]
	v_fma_f64 v[13:14], v[186:187], s[16:17], v[0:1]
	v_fma_f64 v[151:152], v[186:187], s[18:19], v[15:16]
	v_fma_f64 v[15:16], v[196:197], s[18:19], v[155:156]
	v_fma_f64 v[149:150], v[188:189], s[14:15], v[13:14]
	v_fma_f64 v[13:14], v[190:191], s[18:19], v[153:154]
	v_fma_f64 v[147:148], v[190:191], s[16:17], v[15:16]
	v_fma_f64 v[145:146], v[196:197], s[20:21], v[13:14]
	s_and_saveexec_b32 s1, s0
	s_cbranch_execz .LBB0_9
; %bb.8:
	v_fma_f64 v[6:7], v[6:7], 2.0, -v[192:193]
	v_fma_f64 v[13:14], v[165:166], 2.0, -v[218:219]
	;; [unrolled: 1-line block ×23, first 2 shown]
	v_add_f64 v[13:14], v[6:7], -v[13:14]
	v_add_f64 v[19:20], v[17:18], -v[19:20]
	;; [unrolled: 1-line block ×4, first 2 shown]
	v_fma_f64 v[178:179], v[184:185], s[14:15], v[194:195]
	v_fma_f64 v[170:171], v[165:166], s[4:5], v[190:191]
	;; [unrolled: 1-line block ×6, first 2 shown]
	v_fma_f64 v[6:7], v[6:7], 2.0, -v[13:14]
	v_fma_f64 v[17:18], v[17:18], 2.0, -v[19:20]
	;; [unrolled: 1-line block ×4, first 2 shown]
	v_add_f64 v[4:5], v[13:14], v[23:24]
	v_fma_f64 v[176:177], v[176:177], s[16:17], v[178:179]
	v_fma_f64 v[172:173], v[174:175], s[6:7], v[170:171]
	;; [unrolled: 1-line block ×6, first 2 shown]
	v_add_f64 v[2:3], v[21:22], -v[19:20]
	v_fma_f64 v[184:185], v[157:158], 2.0, -v[151:152]
	v_fma_f64 v[161:162], v[163:164], 2.0, -v[143:144]
	v_add_f64 v[180:181], v[6:7], -v[17:18]
	v_add_f64 v[178:179], v[198:199], -v[15:16]
	v_fma_f64 v[188:189], v[13:14], 2.0, -v[4:5]
	v_fma_f64 v[200:201], v[194:195], 2.0, -v[176:177]
	;; [unrolled: 1-line block ×11, first 2 shown]
	ds_write_b128 v40, v[206:209]
	ds_write_b128 v9, v[198:201] offset:416
	ds_write_b128 v9, v[194:197] offset:832
	;; [unrolled: 1-line block ×15, first 2 shown]
.LBB0_9:
	s_or_b32 exec_lo, exec_lo, s1
	s_add_u32 s4, s12, 0x1a00
	s_addc_u32 s5, s13, 0
	s_waitcnt lgkmcnt(0)
	s_barrier
	buffer_gl0_inv
	s_clause 0x5
	global_load_dwordx4 v[153:156], v11, s[4:5]
	global_load_dwordx4 v[0:3], v11, s[4:5] offset:512
	global_load_dwordx4 v[4:7], v11, s[4:5] offset:1024
	;; [unrolled: 1-line block ×3, first 2 shown]
	global_load_dwordx4 v[161:164], v222, s[4:5]
	global_load_dwordx4 v[165:168], v226, s[4:5]
	v_lshlrev_b32_e32 v10, 4, v169
	s_clause 0x6
	global_load_dwordx4 v[169:172], v10, s[4:5]
	global_load_dwordx4 v[173:176], v223, s[4:5]
	;; [unrolled: 1-line block ×7, first 2 shown]
	ds_read_b128 v[197:200], v40
	s_mov_b32 s42, 0x4267c47c
	s_mov_b32 s43, 0xbfddbe06
	;; [unrolled: 1-line block ×36, first 2 shown]
	s_waitcnt vmcnt(12) lgkmcnt(0)
	v_mul_f64 v[13:14], v[199:200], v[155:156]
	v_mul_f64 v[15:16], v[197:198], v[155:156]
	v_fma_f64 v[197:198], v[197:198], v[153:154], -v[13:14]
	v_fma_f64 v[199:200], v[199:200], v[153:154], v[15:16]
	ds_write_b128 v40, v[197:200]
	ds_read_b128 v[153:156], v9 offset:512
	ds_read_b128 v[197:200], v9 offset:1024
	;; [unrolled: 1-line block ×4, first 2 shown]
	s_waitcnt vmcnt(11) lgkmcnt(3)
	v_mul_f64 v[13:14], v[155:156], v[2:3]
	v_mul_f64 v[2:3], v[153:154], v[2:3]
	s_waitcnt vmcnt(10) lgkmcnt(2)
	v_mul_f64 v[15:16], v[199:200], v[6:7]
	v_mul_f64 v[6:7], v[197:198], v[6:7]
	v_fma_f64 v[153:154], v[153:154], v[0:1], -v[13:14]
	v_fma_f64 v[155:156], v[155:156], v[0:1], v[2:3]
	ds_read_b128 v[0:3], v9 offset:2048
	s_waitcnt vmcnt(9) lgkmcnt(2)
	v_mul_f64 v[13:14], v[203:204], v[159:160]
	v_mul_f64 v[17:18], v[201:202], v[159:160]
	v_fma_f64 v[197:198], v[197:198], v[4:5], -v[15:16]
	v_fma_f64 v[199:200], v[199:200], v[4:5], v[6:7]
	v_lshlrev_b32_e32 v6, 4, v227
	buffer_store_dword v6, off, s[48:51], 0 offset:304 ; 4-byte Folded Spill
	v_add_nc_u32_e32 v6, v6, v11
	s_waitcnt vmcnt(8) lgkmcnt(0)
	v_mul_f64 v[4:5], v[2:3], v[163:164]
	v_mul_f64 v[15:16], v[0:1], v[163:164]
	v_fma_f64 v[201:202], v[201:202], v[157:158], -v[13:14]
	v_fma_f64 v[203:204], v[203:204], v[157:158], v[17:18]
	ds_read_b128 v[157:160], v9 offset:3584
	s_waitcnt vmcnt(7)
	v_mul_f64 v[13:14], v[208:209], v[167:168]
	v_mul_f64 v[17:18], v[206:207], v[167:168]
	v_fma_f64 v[0:1], v[0:1], v[161:162], -v[4:5]
	v_fma_f64 v[2:3], v[2:3], v[161:162], v[15:16]
	ds_read_b128 v[161:164], v6 offset:3072
	ds_read_b128 v[210:213], v9 offset:6144
	s_waitcnt vmcnt(5) lgkmcnt(2)
	v_mul_f64 v[15:16], v[159:160], v[175:176]
	v_fma_f64 v[206:207], v[206:207], v[165:166], -v[13:14]
	v_fma_f64 v[208:209], v[208:209], v[165:166], v[17:18]
	v_mul_f64 v[17:18], v[157:158], v[175:176]
	s_waitcnt lgkmcnt(1)
	v_mul_f64 v[4:5], v[163:164], v[171:172]
	v_mul_f64 v[13:14], v[161:162], v[171:172]
	v_fma_f64 v[157:158], v[157:158], v[173:174], -v[15:16]
	v_fma_f64 v[159:160], v[159:160], v[173:174], v[17:18]
	v_fma_f64 v[161:162], v[161:162], v[169:170], -v[4:5]
	v_fma_f64 v[163:164], v[163:164], v[169:170], v[13:14]
	ds_read_b128 v[165:168], v9 offset:4096
	ds_read_b128 v[169:172], v9 offset:4608
	s_waitcnt vmcnt(4) lgkmcnt(1)
	v_mul_f64 v[4:5], v[167:168], v[179:180]
	v_mul_f64 v[13:14], v[165:166], v[179:180]
	s_waitcnt vmcnt(3) lgkmcnt(0)
	v_mul_f64 v[15:16], v[171:172], v[183:184]
	v_mul_f64 v[17:18], v[169:170], v[183:184]
	v_fma_f64 v[165:166], v[165:166], v[177:178], -v[4:5]
	v_fma_f64 v[167:168], v[167:168], v[177:178], v[13:14]
	ds_read_b128 v[173:176], v9 offset:5120
	ds_read_b128 v[177:180], v9 offset:5632
	v_fma_f64 v[169:170], v[169:170], v[181:182], -v[15:16]
	v_fma_f64 v[171:172], v[171:172], v[181:182], v[17:18]
	ds_write_b128 v9, v[153:156] offset:512
	ds_write_b128 v9, v[197:200] offset:1024
	;; [unrolled: 1-line block ×6, first 2 shown]
	buffer_store_dword v6, off, s[48:51], 0 offset:244 ; 4-byte Folded Spill
	s_waitcnt vmcnt(2) lgkmcnt(7)
	v_mul_f64 v[4:5], v[175:176], v[187:188]
	v_mul_f64 v[13:14], v[173:174], v[187:188]
	s_waitcnt vmcnt(1) lgkmcnt(6)
	v_mul_f64 v[15:16], v[179:180], v[191:192]
	v_mul_f64 v[17:18], v[177:178], v[191:192]
	v_fma_f64 v[173:174], v[173:174], v[185:186], -v[4:5]
	v_fma_f64 v[175:176], v[175:176], v[185:186], v[13:14]
	s_waitcnt vmcnt(0)
	v_mul_f64 v[4:5], v[212:213], v[195:196]
	v_mul_f64 v[13:14], v[210:211], v[195:196]
	v_fma_f64 v[177:178], v[177:178], v[189:190], -v[15:16]
	v_fma_f64 v[179:180], v[179:180], v[189:190], v[17:18]
	v_fma_f64 v[181:182], v[210:211], v[193:194], -v[4:5]
	v_fma_f64 v[183:184], v[212:213], v[193:194], v[13:14]
	ds_write_b128 v9, v[157:160] offset:3584
	ds_write_b128 v9, v[165:168] offset:4096
	ds_write_b128 v9, v[169:172] offset:4608
	ds_write_b128 v9, v[173:176] offset:5120
	ds_write_b128 v9, v[177:180] offset:5632
	ds_write_b128 v9, v[181:184] offset:6144
	s_waitcnt lgkmcnt(0)
	s_waitcnt_vscnt null, 0x0
	s_barrier
	buffer_gl0_inv
	ds_read_b128 v[157:160], v40
	ds_read_b128 v[169:172], v9 offset:512
	ds_read_b128 v[153:156], v9 offset:1024
	;; [unrolled: 1-line block ×3, first 2 shown]
	s_waitcnt lgkmcnt(2)
	v_add_f64 v[0:1], v[157:158], v[169:170]
	v_add_f64 v[2:3], v[159:160], v[171:172]
	s_waitcnt lgkmcnt(1)
	v_add_f64 v[0:1], v[0:1], v[153:154]
	v_add_f64 v[2:3], v[2:3], v[155:156]
	;; [unrolled: 3-line block ×3, first 2 shown]
	ds_read_b128 v[165:168], v9 offset:2048
	ds_read_b128 v[173:176], v9 offset:6144
	;; [unrolled: 1-line block ×6, first 2 shown]
	buffer_store_dword v40, off, s[48:51], 0 offset:208 ; 4-byte Folded Spill
	s_waitcnt lgkmcnt(4)
	v_add_f64 v[15:16], v[171:172], -v[175:176]
	v_add_f64 v[4:5], v[177:178], v[165:166]
	v_add_f64 v[13:14], v[179:180], v[167:168]
	;; [unrolled: 1-line block ×4, first 2 shown]
	s_waitcnt lgkmcnt(1)
	v_add_f64 v[179:180], v[181:182], v[185:186]
	v_add_f64 v[177:178], v[181:182], -v[185:186]
	v_add_f64 v[226:227], v[183:184], v[187:188]
	v_add_f64 v[228:229], v[183:184], -v[187:188]
	v_add_f64 v[169:170], v[169:170], -v[173:174]
	s_waitcnt lgkmcnt(0)
	v_add_f64 v[238:239], v[2:3], v[199:200]
	v_add_f64 v[244:245], v[2:3], -v[199:200]
	v_mul_f64 v[19:20], v[15:16], s[42:43]
	v_add_f64 v[4:5], v[4:5], v[0:1]
	v_add_f64 v[13:14], v[13:14], v[2:3]
	v_mul_f64 v[21:22], v[15:16], s[24:25]
	v_mul_f64 v[23:24], v[15:16], s[18:19]
	;; [unrolled: 1-line block ×12, first 2 shown]
	v_add_f64 v[4:5], v[4:5], v[181:182]
	v_add_f64 v[13:14], v[13:14], v[183:184]
	v_fma_f64 v[181:182], v[17:18], s[22:23], v[19:20]
	v_fma_f64 v[19:20], v[17:18], s[22:23], -v[19:20]
	v_fma_f64 v[189:190], v[17:18], s[14:15], v[21:22]
	v_fma_f64 v[21:22], v[17:18], s[14:15], -v[21:22]
	v_fma_f64 v[191:192], v[17:18], s[30:31], v[23:24]
	v_fma_f64 v[23:24], v[17:18], s[30:31], -v[23:24]
	v_fma_f64 v[193:194], v[17:18], s[16:17], v[25:26]
	v_fma_f64 v[25:26], v[17:18], s[16:17], -v[25:26]
	v_fma_f64 v[214:215], v[169:170], s[44:45], v[201:202]
	v_fma_f64 v[201:202], v[169:170], s[4:5], v[201:202]
	v_mul_f64 v[183:184], v[171:172], s[14:15]
	v_fma_f64 v[212:213], v[169:170], s[38:39], v[195:196]
	v_fma_f64 v[195:196], v[169:170], s[18:19], v[195:196]
	;; [unrolled: 1-line block ×5, first 2 shown]
	v_add_f64 v[4:5], v[4:5], v[185:186]
	v_add_f64 v[13:14], v[13:14], v[187:188]
	v_fma_f64 v[185:186], v[17:18], s[26:27], v[27:28]
	v_fma_f64 v[27:28], v[17:18], s[26:27], -v[27:28]
	v_fma_f64 v[187:188], v[17:18], s[20:21], v[15:16]
	v_fma_f64 v[15:16], v[17:18], s[20:21], -v[15:16]
	v_mul_f64 v[17:18], v[171:172], s[22:23]
	v_add_f64 v[6:7], v[157:158], v[19:20]
	buffer_store_dword v6, off, s[48:51], 0 offset:248 ; 4-byte Folded Spill
	buffer_store_dword v7, off, s[48:51], 0 offset:252 ; 4-byte Folded Spill
	v_fma_f64 v[206:207], v[169:170], s[34:35], v[17:18]
	v_fma_f64 v[17:18], v[169:170], s[42:43], v[17:18]
	v_add_f64 v[25:26], v[157:158], v[25:26]
	v_mul_f64 v[171:172], v[171:172], s[20:21]
	v_add_f64 v[27:28], v[157:158], v[27:28]
	v_fma_f64 v[208:209], v[169:170], s[28:29], v[183:184]
	v_fma_f64 v[210:211], v[169:170], s[24:25], v[183:184]
	v_add_f64 v[232:233], v[157:158], v[15:16]
	v_add_f64 v[4:5], v[4:5], v[197:198]
	;; [unrolled: 1-line block ×15, first 2 shown]
	buffer_store_dword v6, off, s[48:51], 0 offset:256 ; 4-byte Folded Spill
	buffer_store_dword v7, off, s[48:51], 0 offset:260 ; 4-byte Folded Spill
	;; [unrolled: 1-line block ×4, first 2 shown]
	v_add_f64 v[25:26], v[159:160], v[201:202]
	v_fma_f64 v[218:219], v[169:170], s[36:37], v[171:172]
	v_fma_f64 v[169:170], v[169:170], s[6:7], v[171:172]
	buffer_store_dword v25, off, s[48:51], 0 offset:264 ; 4-byte Folded Spill
	buffer_store_dword v26, off, s[48:51], 0 offset:268 ; 4-byte Folded Spill
	;; [unrolled: 1-line block ×4, first 2 shown]
	v_add_f64 v[27:28], v[159:160], v[203:204]
	v_add_f64 v[15:16], v[159:160], v[169:170]
	buffer_store_dword v27, off, s[48:51], 0 offset:288 ; 4-byte Folded Spill
	buffer_store_dword v28, off, s[48:51], 0 offset:292 ; 4-byte Folded Spill
	;; [unrolled: 1-line block ×4, first 2 shown]
	v_add_f64 v[17:18], v[157:158], v[189:190]
	v_add_f64 v[19:20], v[159:160], v[208:209]
	;; [unrolled: 1-line block ×6, first 2 shown]
	v_add_f64 v[185:186], v[0:1], -v[197:198]
	ds_read_b128 v[0:3], v9 offset:4608
	ds_read_b128 v[169:172], v9 offset:5120
	;; [unrolled: 1-line block ×3, first 2 shown]
	v_mul_f64 v[208:209], v[238:239], s[26:27]
	v_fma_f64 v[43:44], v[187:188], s[30:31], v[41:42]
	s_waitcnt lgkmcnt(2)
	v_add_f64 v[234:235], v[4:5], v[0:1]
	v_add_f64 v[199:200], v[165:166], v[0:1]
	s_waitcnt lgkmcnt(0)
	v_add_f64 v[4:5], v[155:156], -v[159:160]
	v_add_f64 v[216:217], v[153:154], v[157:158]
	v_add_f64 v[250:251], v[167:168], v[2:3]
	v_add_f64 v[197:198], v[165:166], -v[0:1]
	v_add_f64 v[252:253], v[167:168], -v[2:3]
	v_add_f64 v[236:237], v[13:14], v[2:3]
	v_add_f64 v[0:1], v[163:164], -v[171:172]
	v_add_f64 v[2:3], v[155:156], v[159:160]
	v_add_f64 v[203:204], v[161:162], v[169:170]
	;; [unrolled: 1-line block ×3, first 2 shown]
	v_add_f64 v[214:215], v[153:154], -v[157:158]
	v_add_f64 v[201:202], v[161:162], -v[169:170]
	v_add_f64 v[234:235], v[234:235], v[169:170]
	v_mul_f64 v[218:219], v[4:5], s[24:25]
	v_mul_f64 v[212:213], v[250:251], s[16:17]
	;; [unrolled: 1-line block ×3, first 2 shown]
	v_add_f64 v[236:237], v[236:237], v[171:172]
	v_mul_f64 v[222:223], v[0:1], s[18:19]
	v_mul_f64 v[49:50], v[2:3], s[30:31]
	s_clause 0x1
	buffer_load_dword v171, off, s[48:51], 0 offset:296
	buffer_load_dword v172, off, s[48:51], 0 offset:300
	v_mul_f64 v[224:225], v[254:255], s[30:31]
	v_fma_f64 v[13:14], v[216:217], s[14:15], v[218:219]
	v_fma_f64 v[27:28], v[203:204], s[30:31], v[222:223]
	v_add_f64 v[13:14], v[13:14], v[220:221]
	v_mul_f64 v[220:221], v[2:3], s[14:15]
	v_add_f64 v[13:14], v[27:28], v[13:14]
	v_fma_f64 v[15:16], v[214:215], s[28:29], v[220:221]
	v_fma_f64 v[27:28], v[201:202], s[38:39], v[224:225]
	v_add_f64 v[15:16], v[15:16], v[206:207]
	v_mul_f64 v[206:207], v[244:245], s[12:13]
	v_add_f64 v[15:16], v[27:28], v[15:16]
	v_fma_f64 v[27:28], v[199:200], s[16:17], v[210:211]
	v_add_f64 v[13:14], v[27:28], v[13:14]
	v_fma_f64 v[27:28], v[197:198], s[44:45], v[212:213]
	;; [unrolled: 2-line block ×6, first 2 shown]
	v_add_f64 v[155:156], v[13:14], v[15:16]
	v_mul_f64 v[13:14], v[4:5], s[4:5]
	v_fma_f64 v[15:16], v[216:217], s[16:17], v[13:14]
	v_fma_f64 v[13:14], v[216:217], s[16:17], -v[13:14]
	v_add_f64 v[15:16], v[15:16], v[17:18]
	v_mul_f64 v[17:18], v[2:3], s[16:17]
	v_add_f64 v[13:14], v[13:14], v[21:22]
	v_mul_f64 v[21:22], v[254:255], s[16:17]
	v_fma_f64 v[27:28], v[214:215], s[44:45], v[17:18]
	v_fma_f64 v[17:18], v[214:215], s[4:5], v[17:18]
	v_add_f64 v[19:20], v[27:28], v[19:20]
	v_mul_f64 v[27:28], v[0:1], s[6:7]
	v_add_f64 v[10:11], v[17:18], v[10:11]
	v_fma_f64 v[39:40], v[203:204], s[20:21], v[27:28]
	v_fma_f64 v[17:18], v[203:204], s[20:21], -v[27:28]
	v_mul_f64 v[27:28], v[252:253], s[34:35]
	v_add_f64 v[15:16], v[39:40], v[15:16]
	v_mul_f64 v[39:40], v[254:255], s[20:21]
	v_add_f64 v[13:14], v[17:18], v[13:14]
	v_fma_f64 v[161:162], v[201:202], s[36:37], v[39:40]
	v_fma_f64 v[17:18], v[201:202], s[6:7], v[39:40]
	v_mul_f64 v[39:40], v[244:245], s[24:25]
	v_add_f64 v[19:20], v[161:162], v[19:20]
	v_mul_f64 v[161:162], v[252:253], s[40:41]
	v_add_f64 v[10:11], v[17:18], v[10:11]
	v_fma_f64 v[163:164], v[199:200], s[26:27], v[161:162]
	v_fma_f64 v[17:18], v[199:200], s[26:27], -v[161:162]
	v_add_f64 v[15:16], v[163:164], v[15:16]
	v_mul_f64 v[163:164], v[250:251], s[26:27]
	v_add_f64 v[13:14], v[17:18], v[13:14]
	v_add_f64 v[15:16], v[43:44], v[15:16]
	v_fma_f64 v[165:166], v[197:198], s[12:13], v[163:164]
	v_mul_f64 v[43:44], v[238:239], s[30:31]
	v_fma_f64 v[17:18], v[197:198], s[40:41], v[163:164]
	v_add_f64 v[19:20], v[165:166], v[19:20]
	v_fma_f64 v[165:166], v[185:186], s[18:19], v[43:44]
	v_add_f64 v[10:11], v[17:18], v[10:11]
	v_fma_f64 v[17:18], v[187:188], s[30:31], -v[41:42]
	v_mul_f64 v[41:42], v[238:239], s[14:15]
	v_add_f64 v[19:20], v[165:166], v[19:20]
	v_add_f64 v[165:166], v[47:48], v[15:16]
	v_mul_f64 v[15:16], v[226:227], s[22:23]
	v_add_f64 v[13:14], v[17:18], v[13:14]
	v_fma_f64 v[17:18], v[185:186], s[38:39], v[43:44]
	v_mul_f64 v[43:44], v[228:229], s[12:13]
	v_fma_f64 v[47:48], v[177:178], s[42:43], v[15:16]
	v_fma_f64 v[15:16], v[177:178], s[34:35], v[15:16]
	v_add_f64 v[10:11], v[17:18], v[10:11]
	v_fma_f64 v[17:18], v[179:180], s[22:23], -v[45:46]
	v_add_f64 v[167:168], v[47:48], v[19:20]
	v_mul_f64 v[19:20], v[0:1], s[44:45]
	v_add_f64 v[163:164], v[15:16], v[10:11]
	v_mul_f64 v[10:11], v[4:5], s[6:7]
	;; [unrolled: 2-line block ×3, first 2 shown]
	v_mul_f64 v[47:48], v[4:5], s[38:39]
	v_fma_f64 v[15:16], v[203:204], s[16:17], v[19:20]
	v_fma_f64 v[19:20], v[203:204], s[16:17], -v[19:20]
	v_fma_f64 v[13:14], v[216:217], s[20:21], v[10:11]
	v_fma_f64 v[10:11], v[216:217], s[20:21], -v[10:11]
	v_add_f64 v[6:7], v[13:14], v[6:7]
	v_fma_f64 v[13:14], v[214:215], s[36:37], v[17:18]
	v_add_f64 v[10:11], v[10:11], v[23:24]
	v_fma_f64 v[17:18], v[214:215], s[6:7], v[17:18]
	v_add_f64 v[6:7], v[15:16], v[6:7]
	v_add_f64 v[13:14], v[13:14], v[29:30]
	v_fma_f64 v[15:16], v[201:202], s[4:5], v[21:22]
	v_mul_f64 v[29:30], v[250:251], s[22:23]
	v_add_f64 v[17:18], v[17:18], v[31:32]
	v_add_f64 v[10:11], v[19:20], v[10:11]
	v_fma_f64 v[19:20], v[201:202], s[44:45], v[21:22]
	v_mul_f64 v[31:32], v[0:1], s[34:35]
	v_add_f64 v[13:14], v[15:16], v[13:14]
	v_fma_f64 v[15:16], v[199:200], s[22:23], v[27:28]
	v_add_f64 v[17:18], v[19:20], v[17:18]
	v_fma_f64 v[19:20], v[199:200], s[22:23], -v[27:28]
	v_fma_f64 v[23:24], v[203:204], s[22:23], v[31:32]
	v_fma_f64 v[31:32], v[203:204], s[22:23], -v[31:32]
	v_add_f64 v[6:7], v[15:16], v[6:7]
	v_fma_f64 v[15:16], v[197:198], s[42:43], v[29:30]
	v_add_f64 v[10:11], v[19:20], v[10:11]
	v_fma_f64 v[19:20], v[197:198], s[34:35], v[29:30]
	v_mul_f64 v[29:30], v[2:3], s[26:27]
	v_add_f64 v[13:14], v[15:16], v[13:14]
	v_fma_f64 v[15:16], v[187:188], s[14:15], v[39:40]
	v_add_f64 v[17:18], v[19:20], v[17:18]
	v_fma_f64 v[19:20], v[187:188], s[14:15], -v[39:40]
	v_fma_f64 v[21:22], v[214:215], s[12:13], v[29:30]
	v_mul_f64 v[39:40], v[250:251], s[30:31]
	v_fma_f64 v[29:30], v[214:215], s[40:41], v[29:30]
	v_add_f64 v[6:7], v[15:16], v[6:7]
	v_fma_f64 v[15:16], v[185:186], s[28:29], v[41:42]
	v_add_f64 v[10:11], v[19:20], v[10:11]
	;; [unrolled: 2-line block ×3, first 2 shown]
	v_mul_f64 v[35:36], v[252:253], s[18:19]
	v_mul_f64 v[41:42], v[244:245], s[36:37]
	v_add_f64 v[15:16], v[15:16], v[13:14]
	v_fma_f64 v[13:14], v[179:180], s[26:27], v[43:44]
	v_add_f64 v[19:20], v[19:20], v[17:18]
	v_fma_f64 v[17:18], v[179:180], s[26:27], -v[43:44]
	v_mul_f64 v[43:44], v[238:239], s[20:21]
	v_add_f64 v[13:14], v[13:14], v[6:7]
	v_mul_f64 v[6:7], v[226:227], s[26:27]
	v_add_f64 v[17:18], v[17:18], v[10:11]
	v_fma_f64 v[45:46], v[177:178], s[40:41], v[6:7]
	v_fma_f64 v[6:7], v[177:178], s[12:13], v[6:7]
	v_add_f64 v[15:16], v[45:46], v[15:16]
	v_add_f64 v[19:20], v[6:7], v[19:20]
	v_mul_f64 v[6:7], v[4:5], s[40:41]
	v_mul_f64 v[45:46], v[228:229], s[28:29]
	;; [unrolled: 1-line block ×3, first 2 shown]
	v_fma_f64 v[10:11], v[216:217], s[26:27], v[6:7]
	v_fma_f64 v[6:7], v[216:217], s[26:27], -v[6:7]
	v_add_f64 v[10:11], v[10:11], v[33:34]
	v_mul_f64 v[33:34], v[254:255], s[22:23]
	v_add_f64 v[10:11], v[23:24], v[10:11]
	v_fma_f64 v[23:24], v[201:202], s[42:43], v[33:34]
	v_fma_f64 v[33:34], v[201:202], s[34:35], v[33:34]
	v_add_f64 v[21:22], v[23:24], v[21:22]
	v_fma_f64 v[23:24], v[199:200], s[30:31], v[35:36]
	v_fma_f64 v[35:36], v[199:200], s[30:31], -v[35:36]
	v_add_f64 v[10:11], v[23:24], v[10:11]
	v_fma_f64 v[23:24], v[197:198], s[38:39], v[39:40]
	v_fma_f64 v[39:40], v[197:198], s[18:19], v[39:40]
	v_add_f64 v[21:22], v[23:24], v[21:22]
	v_fma_f64 v[23:24], v[187:188], s[20:21], v[41:42]
	v_fma_f64 v[41:42], v[187:188], s[20:21], -v[41:42]
	v_add_f64 v[10:11], v[23:24], v[10:11]
	v_fma_f64 v[23:24], v[185:186], s[6:7], v[43:44]
	v_fma_f64 v[43:44], v[185:186], s[36:37], v[43:44]
	v_add_f64 v[23:24], v[23:24], v[21:22]
	v_fma_f64 v[21:22], v[179:180], s[14:15], v[45:46]
	v_add_f64 v[21:22], v[21:22], v[10:11]
	v_mul_f64 v[10:11], v[226:227], s[14:15]
	v_fma_f64 v[27:28], v[177:178], s[24:25], v[10:11]
	v_fma_f64 v[10:11], v[177:178], s[28:29], v[10:11]
	v_add_f64 v[23:24], v[27:28], v[23:24]
	v_fma_f64 v[27:28], v[216:217], s[30:31], v[47:48]
	v_fma_f64 v[47:48], v[216:217], s[30:31], -v[47:48]
	v_add_f64 v[25:26], v[27:28], v[25:26]
	v_fma_f64 v[27:28], v[214:215], s[18:19], v[49:50]
	v_fma_f64 v[49:50], v[214:215], s[38:39], v[49:50]
	v_add_f64 v[27:28], v[27:28], v[37:38]
	v_mul_f64 v[37:38], v[0:1], s[24:25]
	v_fma_f64 v[51:52], v[203:204], s[14:15], v[37:38]
	v_fma_f64 v[37:38], v[203:204], s[14:15], -v[37:38]
	v_add_f64 v[25:26], v[51:52], v[25:26]
	v_mul_f64 v[51:52], v[254:255], s[14:15]
	v_fma_f64 v[181:182], v[201:202], s[28:29], v[51:52]
	v_fma_f64 v[51:52], v[201:202], s[24:25], v[51:52]
	v_add_f64 v[27:28], v[181:182], v[27:28]
	v_mul_f64 v[181:182], v[252:253], s[36:37]
	v_mul_f64 v[252:253], v[252:253], s[28:29]
	v_fma_f64 v[183:184], v[199:200], s[20:21], v[181:182]
	v_fma_f64 v[181:182], v[199:200], s[20:21], -v[181:182]
	v_add_f64 v[25:26], v[183:184], v[25:26]
	v_mul_f64 v[183:184], v[250:251], s[20:21]
	v_mul_f64 v[250:251], v[250:251], s[14:15]
	v_fma_f64 v[189:190], v[197:198], s[6:7], v[183:184]
	v_fma_f64 v[183:184], v[197:198], s[36:37], v[183:184]
	v_add_f64 v[27:28], v[189:190], v[27:28]
	v_mul_f64 v[189:190], v[244:245], s[34:35]
	v_mul_f64 v[244:245], v[244:245], s[4:5]
	v_fma_f64 v[191:192], v[187:188], s[22:23], v[189:190]
	v_add_f64 v[25:26], v[191:192], v[25:26]
	v_mul_f64 v[191:192], v[238:239], s[22:23]
	v_mul_f64 v[238:239], v[238:239], s[16:17]
	;; [unrolled: 4-line block ×4, first 2 shown]
	v_fma_f64 v[230:231], v[177:178], s[44:45], v[195:196]
	v_add_f64 v[27:28], v[230:231], v[27:28]
	v_fma_f64 v[230:231], v[216:217], s[22:23], v[4:5]
	v_fma_f64 v[4:5], v[216:217], s[22:23], -v[4:5]
	v_add_f64 v[230:231], v[230:231], v[248:249]
	v_mul_f64 v[248:249], v[2:3], s[22:23]
	v_add_f64 v[4:5], v[4:5], v[232:233]
	v_fma_f64 v[2:3], v[214:215], s[42:43], v[248:249]
	v_fma_f64 v[169:170], v[214:215], s[34:35], v[248:249]
	v_add_f64 v[2:3], v[2:3], v[246:247]
	v_mul_f64 v[246:247], v[0:1], s[12:13]
	s_waitcnt vmcnt(0)
	v_add_f64 v[169:170], v[169:170], v[171:172]
	v_fma_f64 v[0:1], v[203:204], s[26:27], v[246:247]
	v_fma_f64 v[171:172], v[203:204], s[26:27], -v[246:247]
	v_fma_f64 v[203:204], v[203:204], s[30:31], -v[222:223]
	v_add_f64 v[0:1], v[0:1], v[230:231]
	v_mul_f64 v[230:231], v[254:255], s[26:27]
	v_add_f64 v[4:5], v[171:172], v[4:5]
	v_fma_f64 v[254:255], v[201:202], s[40:41], v[230:231]
	v_fma_f64 v[171:172], v[201:202], s[12:13], v[230:231]
	;; [unrolled: 1-line block ×3, first 2 shown]
	v_add_f64 v[2:3], v[254:255], v[2:3]
	v_fma_f64 v[254:255], v[199:200], s[14:15], v[252:253]
	v_add_f64 v[169:170], v[171:172], v[169:170]
	v_fma_f64 v[171:172], v[199:200], s[14:15], -v[252:253]
	v_fma_f64 v[199:200], v[199:200], s[16:17], -v[210:211]
	v_add_f64 v[0:1], v[254:255], v[0:1]
	v_fma_f64 v[254:255], v[197:198], s[24:25], v[250:251]
	v_add_f64 v[4:5], v[171:172], v[4:5]
	v_fma_f64 v[171:172], v[197:198], s[28:29], v[250:251]
	v_fma_f64 v[197:198], v[197:198], s[4:5], v[212:213]
	v_add_f64 v[2:3], v[254:255], v[2:3]
	v_fma_f64 v[254:255], v[187:188], s[16:17], v[244:245]
	v_add_f64 v[169:170], v[171:172], v[169:170]
	v_fma_f64 v[171:172], v[187:188], s[16:17], -v[244:245]
	v_add_f64 v[0:1], v[254:255], v[0:1]
	v_fma_f64 v[254:255], v[185:186], s[44:45], v[238:239]
	v_add_f64 v[4:5], v[171:172], v[4:5]
	v_fma_f64 v[171:172], v[185:186], s[4:5], v[238:239]
	;; [unrolled: 2-line block ×3, first 2 shown]
	v_add_f64 v[171:172], v[171:172], v[169:170]
	v_fma_f64 v[169:170], v[179:180], s[30:31], -v[228:229]
	buffer_load_dword v228, off, s[48:51], 0 offset:208 ; 4-byte Folded Reload
	v_add_f64 v[0:1], v[254:255], v[0:1]
	v_fma_f64 v[254:255], v[177:178], s[18:19], v[226:227]
	v_fma_f64 v[226:227], v[177:178], s[38:39], v[226:227]
	v_add_f64 v[169:170], v[169:170], v[4:5]
	v_add_f64 v[4:5], v[234:235], v[157:158]
	v_fma_f64 v[157:158], v[216:217], s[14:15], -v[218:219]
	v_add_f64 v[2:3], v[254:255], v[2:3]
	v_add_f64 v[171:172], v[226:227], v[171:172]
	;; [unrolled: 1-line block ×3, first 2 shown]
	v_fma_f64 v[159:160], v[214:215], s[24:25], v[220:221]
	s_clause 0x1
	buffer_load_dword v214, off, s[48:51], 0 offset:272
	buffer_load_dword v215, off, s[48:51], 0 offset:276
	v_add_f64 v[173:174], v[4:5], v[173:174]
	v_add_f64 v[175:176], v[226:227], v[175:176]
	s_waitcnt vmcnt(0)
	v_add_f64 v[6:7], v[6:7], v[214:215]
	s_clause 0x1
	buffer_load_dword v214, off, s[48:51], 0 offset:280
	buffer_load_dword v215, off, s[48:51], 0 offset:284
	v_add_f64 v[6:7], v[31:32], v[6:7]
	v_add_f64 v[6:7], v[35:36], v[6:7]
	;; [unrolled: 1-line block ×3, first 2 shown]
	s_waitcnt vmcnt(0)
	v_add_f64 v[47:48], v[47:48], v[214:215]
	s_clause 0x1
	buffer_load_dword v214, off, s[48:51], 0 offset:288
	buffer_load_dword v215, off, s[48:51], 0 offset:292
	v_add_f64 v[31:32], v[37:38], v[47:48]
	v_add_f64 v[31:32], v[181:182], v[31:32]
	s_waitcnt vmcnt(0)
	v_add_f64 v[49:50], v[49:50], v[214:215]
	s_clause 0x1
	buffer_load_dword v214, off, s[48:51], 0 offset:264
	buffer_load_dword v215, off, s[48:51], 0 offset:268
	v_add_f64 v[37:38], v[51:52], v[49:50]
	v_fma_f64 v[51:52], v[187:188], s[26:27], -v[206:207]
	v_fma_f64 v[49:50], v[187:188], s[22:23], -v[189:190]
	v_add_f64 v[35:36], v[183:184], v[37:38]
	v_add_f64 v[31:32], v[49:50], v[31:32]
	s_waitcnt vmcnt(0)
	v_add_f64 v[29:30], v[29:30], v[214:215]
	s_clause 0x1
	buffer_load_dword v214, off, s[48:51], 0 offset:248
	buffer_load_dword v215, off, s[48:51], 0 offset:252
	v_add_f64 v[29:30], v[33:34], v[29:30]
	v_add_f64 v[29:30], v[39:40], v[29:30]
	v_fma_f64 v[39:40], v[179:180], s[14:15], -v[45:46]
	v_fma_f64 v[45:46], v[179:180], s[16:17], -v[193:194]
	v_add_f64 v[29:30], v[43:44], v[29:30]
	v_add_f64 v[181:182], v[45:46], v[31:32]
	s_waitcnt vmcnt(0)
	v_add_f64 v[157:158], v[157:158], v[214:215]
	s_clause 0x2
	buffer_load_dword v214, off, s[48:51], 0 offset:256
	buffer_load_dword v215, off, s[48:51], 0 offset:260
	;; [unrolled: 1-line block ×3, first 2 shown]
	s_waitcnt vmcnt(0)
	s_waitcnt_vscnt null, 0x0
	s_barrier
	buffer_gl0_inv
	v_add_f64 v[33:34], v[203:204], v[157:158]
	v_fma_f64 v[157:158], v[185:186], s[34:35], v[191:192]
	v_add_f64 v[33:34], v[199:200], v[33:34]
	v_add_f64 v[35:36], v[157:158], v[35:36]
	;; [unrolled: 1-line block ×6, first 2 shown]
	v_fma_f64 v[159:160], v[185:186], s[12:13], v[208:209]
	v_fma_f64 v[185:186], v[177:178], s[6:7], v[242:243]
	v_add_f64 v[37:38], v[197:198], v[47:48]
	v_fma_f64 v[47:48], v[179:180], s[20:21], -v[240:241]
	v_fma_f64 v[179:180], v[177:178], s[4:5], v[195:196]
	v_add_f64 v[37:38], v[159:160], v[37:38]
	v_add_f64 v[159:160], v[10:11], v[29:30]
	;; [unrolled: 1-line block ×5, first 2 shown]
	ds_write_b128 v12, v[153:156] offset:16
	ds_write_b128 v12, v[165:168] offset:32
	;; [unrolled: 1-line block ×12, first 2 shown]
	ds_write_b128 v12, v[173:176]
	s_waitcnt lgkmcnt(0)
	s_barrier
	buffer_gl0_inv
	ds_read_b128 v[153:156], v228
	ds_read_b128 v[161:164], v9 offset:512
	ds_read_b128 v[157:160], v9 offset:3328
	;; [unrolled: 1-line block ×11, first 2 shown]
	s_and_saveexec_b32 s1, vcc_lo
	s_cbranch_execz .LBB0_11
; %bb.10:
	ds_read_b128 v[177:180], v206 offset:3072
	ds_read_b128 v[149:152], v9 offset:6400
.LBB0_11:
	s_or_b32 exec_lo, exec_lo, s1
	s_waitcnt lgkmcnt(9)
	v_mul_f64 v[0:1], v[71:72], v[159:160]
	s_waitcnt lgkmcnt(0)
	v_mul_f64 v[26:27], v[63:64], v[151:152]
	v_mul_f64 v[28:29], v[63:64], v[149:150]
	s_barrier
	buffer_gl0_inv
	v_mul_f64 v[2:3], v[71:72], v[157:158]
	v_mul_f64 v[18:19], v[59:60], v[199:200]
	v_mul_f64 v[20:21], v[59:60], v[197:198]
	v_mul_f64 v[4:5], v[79:80], v[171:172]
	v_mul_f64 v[6:7], v[79:80], v[169:170]
	v_mul_f64 v[22:23], v[67:68], v[203:204]
	v_mul_f64 v[24:25], v[67:68], v[201:202]
	v_mul_f64 v[14:15], v[75:76], v[195:196]
	v_mul_f64 v[16:17], v[75:76], v[193:194]
	v_mul_f64 v[10:11], v[83:84], v[191:192]
	v_mul_f64 v[12:13], v[83:84], v[189:190]
	v_fma_f64 v[0:1], v[69:70], v[157:158], v[0:1]
	v_fma_f64 v[26:27], v[61:62], v[149:150], v[26:27]
	v_fma_f64 v[28:29], v[61:62], v[151:152], -v[28:29]
	v_fma_f64 v[2:3], v[69:70], v[159:160], -v[2:3]
	v_fma_f64 v[18:19], v[57:58], v[197:198], v[18:19]
	v_fma_f64 v[20:21], v[57:58], v[199:200], -v[20:21]
	v_fma_f64 v[4:5], v[77:78], v[169:170], v[4:5]
	;; [unrolled: 2-line block ×5, first 2 shown]
	v_fma_f64 v[12:13], v[81:82], v[191:192], -v[12:13]
	v_add_f64 v[61:62], v[153:154], -v[0:1]
	buffer_load_dword v0, off, s[48:51], 0 offset:240 ; 4-byte Folded Reload
	v_add_f64 v[169:170], v[177:178], -v[26:27]
	v_add_f64 v[171:172], v[179:180], -v[28:29]
	;; [unrolled: 1-line block ×13, first 2 shown]
	v_fma_f64 v[57:58], v[153:154], 2.0, -v[61:62]
	v_fma_f64 v[59:60], v[155:156], 2.0, -v[63:64]
	;; [unrolled: 1-line block ×14, first 2 shown]
	s_waitcnt vmcnt(0)
	ds_write_b128 v0, v[61:64] offset:208
	ds_write_b128 v0, v[57:60]
	buffer_load_dword v0, off, s[48:51], 0 offset:236 ; 4-byte Folded Reload
	s_waitcnt vmcnt(0)
	ds_write_b128 v0, v[73:76]
	ds_write_b128 v0, v[65:68] offset:208
	buffer_load_dword v0, off, s[48:51], 0 offset:232 ; 4-byte Folded Reload
	s_waitcnt vmcnt(0)
	ds_write_b128 v0, v[81:84]
	ds_write_b128 v0, v[69:72] offset:208
	;; [unrolled: 4-line block ×5, first 2 shown]
	s_and_saveexec_b32 s1, vcc_lo
	s_cbranch_execz .LBB0_13
; %bb.12:
	buffer_load_dword v1, off, s[48:51], 0 offset:212 ; 4-byte Folded Reload
	v_mov_b32_e32 v0, 26
	s_waitcnt vmcnt(0)
	v_mul_u32_u24_sdwa v0, v1, v0 dst_sel:DWORD dst_unused:UNUSED_PAD src0_sel:WORD_0 src1_sel:DWORD
	buffer_load_dword v1, off, s[48:51], 0 offset:216 ; 4-byte Folded Reload
	s_waitcnt vmcnt(0)
	v_add_nc_u32_sdwa v0, v0, v1 dst_sel:DWORD dst_unused:UNUSED_PAD src0_sel:DWORD src1_sel:BYTE_0
	buffer_load_dword v1, off, s[48:51], 0 offset:304 ; 4-byte Folded Reload
	s_waitcnt vmcnt(0)
	v_lshl_add_u32 v0, v0, 4, v1
	ds_write_b128 v0, v[165:168]
	ds_write_b128 v0, v[169:172] offset:208
.LBB0_13:
	s_or_b32 exec_lo, exec_lo, s1
	s_waitcnt lgkmcnt(0)
	s_barrier
	buffer_gl0_inv
	s_and_saveexec_b32 s1, s0
	s_cbranch_execz .LBB0_15
; %bb.14:
	ds_read_b128 v[57:60], v228
	ds_read_b128 v[61:64], v9 offset:416
	ds_read_b128 v[73:76], v9 offset:832
	;; [unrolled: 1-line block ×15, first 2 shown]
.LBB0_15:
	s_or_b32 exec_lo, exec_lo, s1
	s_and_saveexec_b32 s6, s0
	s_cbranch_execz .LBB0_17
; %bb.16:
	s_waitcnt lgkmcnt(13)
	v_mul_f64 v[0:1], v[95:96], v[73:74]
	s_waitcnt lgkmcnt(11)
	v_mul_f64 v[12:13], v[87:88], v[83:84]
	s_waitcnt lgkmcnt(5)
	v_mul_f64 v[2:3], v[127:128], v[161:162]
	v_mul_f64 v[4:5], v[115:116], v[175:176]
	s_waitcnt lgkmcnt(1)
	v_mul_f64 v[6:7], v[139:140], v[143:144]
	v_mul_f64 v[10:11], v[103:104], v[153:154]
	;; [unrolled: 1-line block ×10, first 2 shown]
	s_waitcnt lgkmcnt(0)
	v_mul_f64 v[30:31], v[135:136], v[147:148]
	v_mul_f64 v[32:33], v[55:56], v[61:62]
	;; [unrolled: 1-line block ×8, first 2 shown]
	v_fma_f64 v[0:1], v[93:94], v[75:76], -v[0:1]
	v_fma_f64 v[12:13], v[85:86], v[81:82], v[12:13]
	v_mul_f64 v[46:47], v[123:124], v[159:160]
	v_mul_f64 v[48:49], v[99:100], v[69:70]
	;; [unrolled: 1-line block ×8, first 2 shown]
	v_fma_f64 v[2:3], v[125:126], v[163:164], -v[2:3]
	v_fma_f64 v[4:5], v[113:114], v[173:174], v[4:5]
	v_fma_f64 v[6:7], v[137:138], v[141:142], v[6:7]
	v_fma_f64 v[10:11], v[101:102], v[155:156], -v[10:11]
	v_fma_f64 v[14:15], v[117:118], v[165:166], v[14:15]
	v_fma_f64 v[16:17], v[113:114], v[175:176], -v[16:17]
	v_fma_f64 v[18:19], v[137:138], v[143:144], -v[18:19]
	v_fma_f64 v[20:21], v[93:94], v[73:74], v[20:21]
	v_fma_f64 v[22:23], v[125:126], v[161:162], v[22:23]
	v_fma_f64 v[24:25], v[89:90], v[67:68], -v[24:25]
	v_fma_f64 v[26:27], v[121:122], v[159:160], -v[26:27]
	v_fma_f64 v[28:29], v[105:106], v[77:78], v[28:29]
	;; [unrolled: 4-line block ×6, first 2 shown]
	v_add_f64 v[2:3], v[0:1], -v[2:3]
	v_add_f64 v[6:7], v[4:5], -v[6:7]
	;; [unrolled: 1-line block ×9, first 2 shown]
	s_mov_b32 s0, 0x667f3bcd
	v_add_f64 v[38:39], v[36:37], -v[38:39]
	s_mov_b32 s1, 0x3fe6a09e
	v_add_f64 v[42:43], v[40:41], -v[42:43]
	;; [unrolled: 2-line block ×6, first 2 shown]
	v_add_f64 v[65:66], v[57:58], -v[65:66]
	v_fma_f64 v[0:1], v[0:1], 2.0, -v[2:3]
	v_add_f64 v[67:68], v[2:3], -v[6:7]
	v_fma_f64 v[59:60], v[59:60], 2.0, -v[10:11]
	;; [unrolled: 2-line block ×3, first 2 shown]
	v_add_f64 v[71:72], v[18:19], v[22:23]
	v_fma_f64 v[20:21], v[20:21], 2.0, -v[22:23]
	v_add_f64 v[73:74], v[26:27], -v[30:31]
	v_fma_f64 v[6:7], v[32:33], 2.0, -v[34:35]
	v_fma_f64 v[16:17], v[16:17], 2.0, -v[18:19]
	v_add_f64 v[75:76], v[34:35], -v[38:39]
	v_fma_f64 v[18:19], v[36:37], 2.0, -v[38:39]
	v_fma_f64 v[28:29], v[28:29], 2.0, -v[30:31]
	;; [unrolled: 1-line block ×3, first 2 shown]
	v_add_f64 v[77:78], v[42:43], v[46:47]
	v_fma_f64 v[32:33], v[44:45], 2.0, -v[46:47]
	v_fma_f64 v[30:31], v[48:49], 2.0, -v[50:51]
	;; [unrolled: 1-line block ×3, first 2 shown]
	v_add_f64 v[79:80], v[50:51], v[54:55]
	v_fma_f64 v[44:45], v[52:53], 2.0, -v[54:55]
	v_fma_f64 v[61:62], v[61:62], 2.0, -v[63:64]
	v_add_f64 v[81:82], v[65:66], v[63:64]
	v_fma_f64 v[36:37], v[57:58], 2.0, -v[65:66]
	v_fma_f64 v[24:25], v[40:41], 2.0, -v[42:43]
	;; [unrolled: 1-line block ×4, first 2 shown]
	v_fma_f64 v[38:39], v[67:68], s[0:1], v[69:70]
	v_fma_f64 v[22:23], v[22:23], 2.0, -v[71:72]
	v_add_f64 v[4:5], v[20:21], -v[4:5]
	v_fma_f64 v[26:27], v[26:27], 2.0, -v[73:74]
	s_mov_b32 s12, 0xcf328d46
	v_add_f64 v[16:17], v[0:1], -v[16:17]
	v_fma_f64 v[34:35], v[34:35], 2.0, -v[75:76]
	v_fma_f64 v[40:41], v[73:74], s[0:1], v[75:76]
	s_mov_b32 s13, 0x3fed906b
	s_mov_b32 s17, 0x3fd87de2
	v_fma_f64 v[42:43], v[46:47], 2.0, -v[77:78]
	v_add_f64 v[28:29], v[32:33], -v[28:29]
	v_add_f64 v[30:31], v[6:7], -v[30:31]
	s_mov_b32 s16, s14
	v_fma_f64 v[46:47], v[54:55], 2.0, -v[79:80]
	v_add_f64 v[18:19], v[44:45], -v[18:19]
	v_add_f64 v[50:51], v[59:60], -v[61:62]
	v_fma_f64 v[48:49], v[65:66], 2.0, -v[81:82]
	v_add_f64 v[12:13], v[36:37], -v[12:13]
	v_add_f64 v[24:25], v[14:15], -v[24:25]
	v_fma_f64 v[52:53], v[77:78], s[0:1], v[79:80]
	v_fma_f64 v[54:55], v[71:72], s[0:1], v[81:82]
	;; [unrolled: 1-line block ×4, first 2 shown]
	s_mov_b32 s19, 0xbfed906b
	s_mov_b32 s18, s12
	v_fma_f64 v[0:1], v[0:1], 2.0, -v[16:17]
	v_fma_f64 v[61:62], v[26:27], s[4:5], v[34:35]
	v_fma_f64 v[40:41], v[77:78], s[4:5], v[40:41]
	v_fma_f64 v[32:33], v[32:33], 2.0, -v[28:29]
	v_add_f64 v[28:29], v[30:31], -v[28:29]
	v_fma_f64 v[6:7], v[6:7], 2.0, -v[30:31]
	v_fma_f64 v[63:64], v[42:43], s[4:5], v[46:47]
	v_fma_f64 v[44:45], v[44:45], 2.0, -v[18:19]
	v_fma_f64 v[58:59], v[59:60], 2.0, -v[50:51]
	v_fma_f64 v[65:66], v[22:23], s[4:5], v[48:49]
	v_add_f64 v[71:72], v[50:51], -v[4:5]
	v_fma_f64 v[36:37], v[36:37], 2.0, -v[12:13]
	v_fma_f64 v[4:5], v[20:21], 2.0, -v[4:5]
	;; [unrolled: 1-line block ×3, first 2 shown]
	v_add_f64 v[24:25], v[24:25], v[18:19]
	v_add_f64 v[93:94], v[12:13], v[16:17]
	v_fma_f64 v[20:21], v[73:74], s[0:1], v[52:53]
	v_fma_f64 v[95:96], v[67:68], s[0:1], v[54:55]
	;; [unrolled: 1-line block ×4, first 2 shown]
	v_fma_f64 v[61:62], v[75:76], 2.0, -v[40:41]
	v_fma_f64 v[30:31], v[30:31], 2.0, -v[28:29]
	v_fma_f64 v[16:17], v[26:27], s[0:1], v[63:64]
	v_add_f64 v[77:78], v[58:59], -v[0:1]
	v_fma_f64 v[65:66], v[2:3], s[0:1], v[65:66]
	v_add_f64 v[0:1], v[44:45], -v[32:33]
	v_fma_f64 v[32:33], v[69:70], 2.0, -v[38:39]
	v_fma_f64 v[50:51], v[50:51], 2.0, -v[71:72]
	v_add_f64 v[4:5], v[36:37], -v[4:5]
	v_add_f64 v[63:64], v[6:7], -v[14:15]
	v_fma_f64 v[52:53], v[18:19], 2.0, -v[24:25]
	v_fma_f64 v[69:70], v[12:13], 2.0, -v[93:94]
	;; [unrolled: 1-line block ×6, first 2 shown]
	v_fma_f64 v[10:11], v[28:29], s[0:1], v[71:72]
	v_fma_f64 v[2:3], v[40:41], s[12:13], v[38:39]
	;; [unrolled: 1-line block ×5, first 2 shown]
	v_fma_f64 v[46:47], v[46:47], 2.0, -v[16:17]
	v_fma_f64 v[85:86], v[58:59], 2.0, -v[77:78]
	;; [unrolled: 1-line block ×4, first 2 shown]
	v_fma_f64 v[54:55], v[61:62], s[14:15], v[32:33]
	v_fma_f64 v[56:57], v[30:31], s[4:5], v[50:51]
	v_fma_f64 v[36:37], v[36:37], 2.0, -v[4:5]
	v_fma_f64 v[6:7], v[6:7], 2.0, -v[63:64]
	v_fma_f64 v[79:80], v[16:17], s[16:17], v[65:66]
	v_fma_f64 v[67:68], v[52:53], s[4:5], v[69:70]
	v_fma_f64 v[75:76], v[26:27], s[14:15], v[81:82]
	v_fma_f64 v[89:90], v[34:35], s[18:19], v[97:98]
	v_fma_f64 v[13:14], v[24:25], s[4:5], v[10:11]
	v_fma_f64 v[2:3], v[20:21], s[14:15], v[2:3]
	v_fma_f64 v[17:18], v[16:17], s[18:19], v[18:19]
	v_add_f64 v[21:22], v[77:78], -v[0:1]
	v_add_f64 v[19:20], v[4:5], v[63:64]
	v_fma_f64 v[11:12], v[28:29], s[0:1], v[83:84]
	v_fma_f64 v[0:1], v[40:41], s[16:17], v[87:88]
	;; [unrolled: 1-line block ×5, first 2 shown]
	v_add_f64 v[57:58], v[36:37], -v[44:45]
	v_add_f64 v[59:60], v[85:86], -v[6:7]
	v_fma_f64 v[15:16], v[42:43], s[12:13], v[79:80]
	v_fma_f64 v[53:54], v[30:31], s[0:1], v[67:68]
	;; [unrolled: 1-line block ×4, first 2 shown]
	v_fma_f64 v[71:72], v[71:72], 2.0, -v[13:14]
	v_fma_f64 v[67:68], v[38:39], 2.0, -v[2:3]
	;; [unrolled: 1-line block ×5, first 2 shown]
	v_fma_f64 v[61:62], v[34:35], s[16:17], v[91:92]
	v_fma_f64 v[83:84], v[32:33], 2.0, -v[25:26]
	v_fma_f64 v[87:88], v[50:51], 2.0, -v[55:56]
	;; [unrolled: 1-line block ×11, first 2 shown]
	ds_write_b128 v228, v[89:92]
	ds_write_b128 v9, v[85:88] offset:832
	ds_write_b128 v9, v[81:84] offset:1248
	;; [unrolled: 1-line block ×15, first 2 shown]
.LBB0_17:
	s_or_b32 exec_lo, exec_lo, s6
	s_waitcnt lgkmcnt(0)
	s_barrier
	buffer_gl0_inv
	ds_read_b128 v[0:3], v228
	ds_read_b128 v[10:13], v9 offset:512
	ds_read_b128 v[14:17], v9 offset:1024
	;; [unrolled: 1-line block ×3, first 2 shown]
	s_clause 0x3
	buffer_load_dword v48, off, s[48:51], 0 offset:16
	buffer_load_dword v49, off, s[48:51], 0 offset:20
	;; [unrolled: 1-line block ×4, first 2 shown]
	v_mad_u64_u32 v[26:27], null, s10, v205, 0
	v_mad_u64_u32 v[28:29], null, s8, v8, 0
	s_mov_b32 s0, 0x13b13b14
	s_mov_b32 s1, 0x3f63b13b
	s_lshl_b64 s[4:5], s[8:9], 9
	v_mov_b32_e32 v4, v27
	v_mov_b32_e32 v27, v29
	v_mad_u64_u32 v[42:43], null, s11, v205, v[4:5]
	v_mad_u64_u32 v[43:44], null, s9, v8, v[27:28]
	v_mov_b32_e32 v27, v42
	v_mov_b32_e32 v29, v43
	v_lshlrev_b64 v[26:27], 4, v[26:27]
	v_lshlrev_b64 v[28:29], 4, v[28:29]
	v_add_co_u32 v8, vcc_lo, s2, v26
	s_waitcnt vmcnt(0) lgkmcnt(3)
	v_mul_f64 v[30:31], v[50:51], v[2:3]
	v_mul_f64 v[32:33], v[50:51], v[0:1]
	s_clause 0x7
	buffer_load_dword v50, off, s[48:51], 0 offset:32
	buffer_load_dword v51, off, s[48:51], 0 offset:36
	;; [unrolled: 1-line block ×8, first 2 shown]
	ds_read_b128 v[22:25], v9 offset:2048
	v_fma_f64 v[30:31], v[48:49], v[0:1], v[30:31]
	v_fma_f64 v[32:33], v[48:49], v[2:3], -v[32:33]
	s_waitcnt vmcnt(4) lgkmcnt(3)
	v_mul_f64 v[34:35], v[52:53], v[12:13]
	v_mul_f64 v[36:37], v[52:53], v[10:11]
	ds_read_b128 v[53:56], v9 offset:2560
	ds_read_b128 v[4:7], v206 offset:3072
	s_clause 0x3
	buffer_load_dword v61, off, s[48:51], 0
	buffer_load_dword v62, off, s[48:51], 0 offset:4
	buffer_load_dword v63, off, s[48:51], 0 offset:8
	;; [unrolled: 1-line block ×3, first 2 shown]
	s_waitcnt vmcnt(4) lgkmcnt(4)
	v_mul_f64 v[38:39], v[59:60], v[16:17]
	v_mul_f64 v[40:41], v[59:60], v[14:15]
	v_add_co_ci_u32_e32 v52, vcc_lo, s3, v27, vcc_lo
	v_add_co_u32 v28, vcc_lo, v8, v28
	v_add_co_ci_u32_e32 v29, vcc_lo, v52, v29, vcc_lo
	v_fma_f64 v[34:35], v[50:51], v[10:11], v[34:35]
	v_fma_f64 v[36:37], v[50:51], v[12:13], -v[36:37]
	ds_read_b128 v[0:3], v9 offset:3584
	ds_read_b128 v[10:13], v9 offset:4096
	s_clause 0x3
	buffer_load_dword v75, off, s[48:51], 0 offset:80
	buffer_load_dword v76, off, s[48:51], 0 offset:84
	;; [unrolled: 1-line block ×4, first 2 shown]
	v_fma_f64 v[38:39], v[57:58], v[14:15], v[38:39]
	v_fma_f64 v[40:41], v[57:58], v[16:17], -v[40:41]
	ds_read_b128 v[14:17], v9 offset:4608
	ds_read_b128 v[57:60], v9 offset:5120
	s_clause 0x3
	buffer_load_dword v71, off, s[48:51], 0 offset:64
	buffer_load_dword v72, off, s[48:51], 0 offset:68
	;; [unrolled: 1-line block ×4, first 2 shown]
	v_mul_f64 v[65:66], v[38:39], s[0:1]
	v_mul_f64 v[67:68], v[40:41], s[0:1]
	s_waitcnt vmcnt(8) lgkmcnt(7)
	v_mul_f64 v[44:45], v[63:64], v[20:21]
	v_mul_f64 v[46:47], v[63:64], v[18:19]
	;; [unrolled: 1-line block ×3, first 2 shown]
	s_waitcnt vmcnt(4) lgkmcnt(6)
	v_mul_f64 v[48:49], v[77:78], v[24:25]
	v_mul_f64 v[50:51], v[77:78], v[22:23]
	v_fma_f64 v[26:27], v[61:62], v[18:19], v[44:45]
	v_fma_f64 v[44:45], v[61:62], v[20:21], -v[46:47]
	v_mul_f64 v[18:19], v[30:31], s[0:1]
	v_mul_f64 v[20:21], v[32:33], s[0:1]
	;; [unrolled: 1-line block ×3, first 2 shown]
	v_add_co_u32 v34, vcc_lo, v28, s4
	v_add_co_ci_u32_e32 v35, vcc_lo, s5, v29, vcc_lo
	s_waitcnt vmcnt(0) lgkmcnt(5)
	v_mul_f64 v[42:43], v[73:74], v[55:56]
	v_add_co_u32 v38, vcc_lo, v34, s4
	v_add_co_ci_u32_e32 v39, vcc_lo, s5, v35, vcc_lo
	v_mul_f64 v[69:70], v[73:74], v[53:54]
	v_add_co_u32 v46, vcc_lo, v38, s4
	v_add_co_ci_u32_e32 v47, vcc_lo, s5, v39, vcc_lo
	v_fma_f64 v[30:31], v[75:76], v[22:23], v[48:49]
	v_fma_f64 v[32:33], v[75:76], v[24:25], -v[50:51]
	s_clause 0x3
	buffer_load_dword v48, off, s[48:51], 0 offset:96
	buffer_load_dword v49, off, s[48:51], 0 offset:100
	buffer_load_dword v50, off, s[48:51], 0 offset:104
	buffer_load_dword v51, off, s[48:51], 0 offset:108
	global_store_dwordx4 v[28:29], v[18:21], off
	global_store_dwordx4 v[34:35], v[61:64], off
	;; [unrolled: 1-line block ×3, first 2 shown]
	ds_read_b128 v[18:21], v9 offset:5632
	ds_read_b128 v[65:68], v9 offset:6144
	s_clause 0x3
	buffer_load_dword v73, off, s[48:51], 0 offset:112
	buffer_load_dword v74, off, s[48:51], 0 offset:116
	;; [unrolled: 1-line block ×4, first 2 shown]
	v_mul_f64 v[24:25], v[44:45], s[0:1]
	v_mul_f64 v[22:23], v[26:27], s[0:1]
	v_fma_f64 v[8:9], v[71:72], v[53:54], v[42:43]
	v_fma_f64 v[26:27], v[71:72], v[55:56], -v[69:70]
	v_mul_f64 v[61:62], v[30:31], s[0:1]
	v_mul_f64 v[63:64], v[32:33], s[0:1]
	v_add_co_u32 v32, vcc_lo, v46, s4
	v_add_co_ci_u32_e32 v33, vcc_lo, s5, v47, vcc_lo
	s_waitcnt vmcnt(4) lgkmcnt(6)
	v_mul_f64 v[36:37], v[50:51], v[6:7]
	v_mul_f64 v[40:41], v[50:51], v[4:5]
	s_waitcnt vmcnt(0) lgkmcnt(5)
	v_mul_f64 v[28:29], v[75:76], v[2:3]
	v_mul_f64 v[30:31], v[75:76], v[0:1]
	s_clause 0x3
	buffer_load_dword v75, off, s[48:51], 0 offset:128
	buffer_load_dword v76, off, s[48:51], 0 offset:132
	;; [unrolled: 1-line block ×4, first 2 shown]
	v_fma_f64 v[36:37], v[48:49], v[4:5], v[36:37]
	v_fma_f64 v[40:41], v[48:49], v[6:7], -v[40:41]
	v_mul_f64 v[4:5], v[8:9], s[0:1]
	v_mul_f64 v[6:7], v[26:27], s[0:1]
	v_fma_f64 v[8:9], v[73:74], v[0:1], v[28:29]
	v_mul_f64 v[0:1], v[36:37], s[0:1]
	v_mul_f64 v[8:9], v[8:9], s[0:1]
	s_waitcnt vmcnt(0) lgkmcnt(4)
	v_mul_f64 v[34:35], v[77:78], v[12:13]
	v_mul_f64 v[38:39], v[77:78], v[10:11]
	s_clause 0x3
	buffer_load_dword v77, off, s[48:51], 0 offset:144
	buffer_load_dword v78, off, s[48:51], 0 offset:148
	buffer_load_dword v79, off, s[48:51], 0 offset:152
	buffer_load_dword v80, off, s[48:51], 0 offset:156
	v_fma_f64 v[26:27], v[75:76], v[12:13], -v[38:39]
	s_waitcnt vmcnt(0) lgkmcnt(3)
	v_mul_f64 v[42:43], v[79:80], v[16:17]
	v_mul_f64 v[44:45], v[79:80], v[14:15]
	s_clause 0x3
	buffer_load_dword v79, off, s[48:51], 0 offset:160
	buffer_load_dword v80, off, s[48:51], 0 offset:164
	;; [unrolled: 1-line block ×4, first 2 shown]
	v_fma_f64 v[28:29], v[77:78], v[14:15], v[42:43]
	v_mul_f64 v[14:15], v[26:27], s[0:1]
	s_waitcnt vmcnt(0) lgkmcnt(2)
	v_mul_f64 v[48:49], v[81:82], v[59:60]
	v_mul_f64 v[50:51], v[81:82], v[57:58]
	s_clause 0x3
	buffer_load_dword v81, off, s[48:51], 0 offset:176
	buffer_load_dword v82, off, s[48:51], 0 offset:180
	;; [unrolled: 1-line block ×4, first 2 shown]
	v_fma_f64 v[36:37], v[79:80], v[59:60], -v[50:51]
	s_waitcnt vmcnt(0) lgkmcnt(1)
	v_mul_f64 v[52:53], v[83:84], v[20:21]
	v_mul_f64 v[54:55], v[83:84], v[18:19]
	s_clause 0x3
	buffer_load_dword v83, off, s[48:51], 0 offset:192
	buffer_load_dword v84, off, s[48:51], 0 offset:196
	;; [unrolled: 1-line block ×4, first 2 shown]
	global_store_dwordx4 v[46:47], v[22:25], off
	global_store_dwordx4 v[32:33], v[61:64], off
	v_fma_f64 v[22:23], v[73:74], v[2:3], -v[30:31]
	v_fma_f64 v[24:25], v[75:76], v[10:11], v[34:35]
	v_fma_f64 v[30:31], v[77:78], v[16:17], -v[44:45]
	v_fma_f64 v[34:35], v[79:80], v[57:58], v[48:49]
	v_mul_f64 v[2:3], v[40:41], s[0:1]
	v_add_co_u32 v32, vcc_lo, v32, s4
	v_add_co_ci_u32_e32 v33, vcc_lo, s5, v33, vcc_lo
	v_mul_f64 v[16:17], v[28:29], s[0:1]
	v_add_co_u32 v46, vcc_lo, v32, s4
	v_add_co_ci_u32_e32 v47, vcc_lo, s5, v33, vcc_lo
	global_store_dwordx4 v[32:33], v[4:7], off
	v_add_co_u32 v48, vcc_lo, v46, s4
	v_add_co_ci_u32_e32 v49, vcc_lo, s5, v47, vcc_lo
	v_fma_f64 v[38:39], v[81:82], v[18:19], v[52:53]
	v_fma_f64 v[40:41], v[81:82], v[20:21], -v[54:55]
	v_add_co_u32 v50, vcc_lo, v48, s4
	v_mul_f64 v[10:11], v[22:23], s[0:1]
	v_mul_f64 v[12:13], v[24:25], s[0:1]
	v_add_co_ci_u32_e32 v51, vcc_lo, s5, v49, vcc_lo
	v_mul_f64 v[18:19], v[30:31], s[0:1]
	v_mul_f64 v[20:21], v[34:35], s[0:1]
	;; [unrolled: 1-line block ×3, first 2 shown]
	v_add_co_u32 v34, vcc_lo, v50, s4
	v_add_co_ci_u32_e32 v35, vcc_lo, s5, v51, vcc_lo
	global_store_dwordx4 v[46:47], v[0:3], off
	v_add_co_u32 v4, vcc_lo, v34, s4
	v_add_co_ci_u32_e32 v5, vcc_lo, s5, v35, vcc_lo
	v_add_co_u32 v0, vcc_lo, v4, s4
	v_mul_f64 v[24:25], v[38:39], s[0:1]
	v_mul_f64 v[26:27], v[40:41], s[0:1]
	v_add_co_ci_u32_e32 v1, vcc_lo, s5, v5, vcc_lo
	v_add_co_u32 v2, vcc_lo, v0, s4
	global_store_dwordx4 v[48:49], v[8:11], off
	v_add_co_ci_u32_e32 v3, vcc_lo, s5, v1, vcc_lo
	s_waitcnt vmcnt(0) lgkmcnt(0)
	v_mul_f64 v[69:70], v[85:86], v[67:68]
	v_mul_f64 v[71:72], v[85:86], v[65:66]
	v_fma_f64 v[42:43], v[83:84], v[65:66], v[69:70]
	v_fma_f64 v[44:45], v[83:84], v[67:68], -v[71:72]
	v_mul_f64 v[28:29], v[42:43], s[0:1]
	v_mul_f64 v[30:31], v[44:45], s[0:1]
	global_store_dwordx4 v[50:51], v[12:15], off
	global_store_dwordx4 v[34:35], v[16:19], off
	;; [unrolled: 1-line block ×5, first 2 shown]
.LBB0_18:
	s_endpgm
	.section	.rodata,"a",@progbits
	.p2align	6, 0x0
	.amdhsa_kernel bluestein_single_fwd_len416_dim1_dp_op_CI_CI
		.amdhsa_group_segment_fixed_size 13312
		.amdhsa_private_segment_fixed_size 312
		.amdhsa_kernarg_size 104
		.amdhsa_user_sgpr_count 6
		.amdhsa_user_sgpr_private_segment_buffer 1
		.amdhsa_user_sgpr_dispatch_ptr 0
		.amdhsa_user_sgpr_queue_ptr 0
		.amdhsa_user_sgpr_kernarg_segment_ptr 1
		.amdhsa_user_sgpr_dispatch_id 0
		.amdhsa_user_sgpr_flat_scratch_init 0
		.amdhsa_user_sgpr_private_segment_size 0
		.amdhsa_wavefront_size32 1
		.amdhsa_uses_dynamic_stack 0
		.amdhsa_system_sgpr_private_segment_wavefront_offset 1
		.amdhsa_system_sgpr_workgroup_id_x 1
		.amdhsa_system_sgpr_workgroup_id_y 0
		.amdhsa_system_sgpr_workgroup_id_z 0
		.amdhsa_system_sgpr_workgroup_info 0
		.amdhsa_system_vgpr_workitem_id 0
		.amdhsa_next_free_vgpr 256
		.amdhsa_next_free_sgpr 52
		.amdhsa_reserve_vcc 1
		.amdhsa_reserve_flat_scratch 0
		.amdhsa_float_round_mode_32 0
		.amdhsa_float_round_mode_16_64 0
		.amdhsa_float_denorm_mode_32 3
		.amdhsa_float_denorm_mode_16_64 3
		.amdhsa_dx10_clamp 1
		.amdhsa_ieee_mode 1
		.amdhsa_fp16_overflow 0
		.amdhsa_workgroup_processor_mode 1
		.amdhsa_memory_ordered 1
		.amdhsa_forward_progress 0
		.amdhsa_shared_vgpr_count 0
		.amdhsa_exception_fp_ieee_invalid_op 0
		.amdhsa_exception_fp_denorm_src 0
		.amdhsa_exception_fp_ieee_div_zero 0
		.amdhsa_exception_fp_ieee_overflow 0
		.amdhsa_exception_fp_ieee_underflow 0
		.amdhsa_exception_fp_ieee_inexact 0
		.amdhsa_exception_int_div_zero 0
	.end_amdhsa_kernel
	.text
.Lfunc_end0:
	.size	bluestein_single_fwd_len416_dim1_dp_op_CI_CI, .Lfunc_end0-bluestein_single_fwd_len416_dim1_dp_op_CI_CI
                                        ; -- End function
	.section	.AMDGPU.csdata,"",@progbits
; Kernel info:
; codeLenInByte = 18672
; NumSgprs: 54
; NumVgprs: 256
; ScratchSize: 312
; MemoryBound: 0
; FloatMode: 240
; IeeeMode: 1
; LDSByteSize: 13312 bytes/workgroup (compile time only)
; SGPRBlocks: 6
; VGPRBlocks: 31
; NumSGPRsForWavesPerEU: 54
; NumVGPRsForWavesPerEU: 256
; Occupancy: 4
; WaveLimiterHint : 1
; COMPUTE_PGM_RSRC2:SCRATCH_EN: 1
; COMPUTE_PGM_RSRC2:USER_SGPR: 6
; COMPUTE_PGM_RSRC2:TRAP_HANDLER: 0
; COMPUTE_PGM_RSRC2:TGID_X_EN: 1
; COMPUTE_PGM_RSRC2:TGID_Y_EN: 0
; COMPUTE_PGM_RSRC2:TGID_Z_EN: 0
; COMPUTE_PGM_RSRC2:TIDIG_COMP_CNT: 0
	.text
	.p2alignl 6, 3214868480
	.fill 48, 4, 3214868480
	.type	__hip_cuid_a381537c60831608,@object ; @__hip_cuid_a381537c60831608
	.section	.bss,"aw",@nobits
	.globl	__hip_cuid_a381537c60831608
__hip_cuid_a381537c60831608:
	.byte	0                               ; 0x0
	.size	__hip_cuid_a381537c60831608, 1

	.ident	"AMD clang version 19.0.0git (https://github.com/RadeonOpenCompute/llvm-project roc-6.4.0 25133 c7fe45cf4b819c5991fe208aaa96edf142730f1d)"
	.section	".note.GNU-stack","",@progbits
	.addrsig
	.addrsig_sym __hip_cuid_a381537c60831608
	.amdgpu_metadata
---
amdhsa.kernels:
  - .args:
      - .actual_access:  read_only
        .address_space:  global
        .offset:         0
        .size:           8
        .value_kind:     global_buffer
      - .actual_access:  read_only
        .address_space:  global
        .offset:         8
        .size:           8
        .value_kind:     global_buffer
      - .actual_access:  read_only
        .address_space:  global
        .offset:         16
        .size:           8
        .value_kind:     global_buffer
      - .actual_access:  read_only
        .address_space:  global
        .offset:         24
        .size:           8
        .value_kind:     global_buffer
      - .actual_access:  read_only
        .address_space:  global
        .offset:         32
        .size:           8
        .value_kind:     global_buffer
      - .offset:         40
        .size:           8
        .value_kind:     by_value
      - .address_space:  global
        .offset:         48
        .size:           8
        .value_kind:     global_buffer
      - .address_space:  global
        .offset:         56
        .size:           8
        .value_kind:     global_buffer
      - .address_space:  global
        .offset:         64
        .size:           8
        .value_kind:     global_buffer
      - .address_space:  global
        .offset:         72
        .size:           8
        .value_kind:     global_buffer
      - .offset:         80
        .size:           4
        .value_kind:     by_value
      - .address_space:  global
        .offset:         88
        .size:           8
        .value_kind:     global_buffer
      - .address_space:  global
        .offset:         96
        .size:           8
        .value_kind:     global_buffer
    .group_segment_fixed_size: 13312
    .kernarg_segment_align: 8
    .kernarg_segment_size: 104
    .language:       OpenCL C
    .language_version:
      - 2
      - 0
    .max_flat_workgroup_size: 64
    .name:           bluestein_single_fwd_len416_dim1_dp_op_CI_CI
    .private_segment_fixed_size: 312
    .sgpr_count:     54
    .sgpr_spill_count: 0
    .symbol:         bluestein_single_fwd_len416_dim1_dp_op_CI_CI.kd
    .uniform_work_group_size: 1
    .uses_dynamic_stack: false
    .vgpr_count:     256
    .vgpr_spill_count: 77
    .wavefront_size: 32
    .workgroup_processor_mode: 1
amdhsa.target:   amdgcn-amd-amdhsa--gfx1030
amdhsa.version:
  - 1
  - 2
...

	.end_amdgpu_metadata
